;; amdgpu-corpus repo=ROCm/aiter kind=harvested arch=n/a opt=n/a

/root/src/amdgpu-assembly/repos/ROCm__aiter/hsa/gfx942/fmoe/gelu/fmoe_int8_g1u0_subGU_512_gelu.co:	file format elf64-amdgpu

Disassembly of section .text:

0000000000002b00 <fmoe_int8_g1u0_subGU_512_gelu>:
	s_and_b32 s1, s1, 0xffff                                   // 000000002B00: 8601FF01 0000FFFF
	s_load_dwordx2 s[8:9], s[0:1], 0x0                         // 000000002B08: C0060200 00000000
	s_load_dwordx2 s[20:21], s[0:1], 0x10                      // 000000002B10: C0060500 00000010
	s_load_dwordx2 s[24:25], s[0:1], 0x20                      // 000000002B18: C0060600 00000020
	s_load_dwordx2 s[50:51], s[0:1], 0x30                      // 000000002B20: C0060C80 00000030
	s_load_dwordx2 s[12:13], s[0:1], 0x40                      // 000000002B28: C0060300 00000040
	s_load_dwordx2 s[28:29], s[0:1], 0x50                      // 000000002B30: C0060700 00000050
	s_load_dwordx2 s[32:33], s[0:1], 0x60                      // 000000002B38: C0060800 00000060
	s_load_dwordx2 s[16:17], s[0:1], 0x70                      // 000000002B40: C0060400 00000070
	s_load_dwordx2 s[36:37], s[0:1], 0x80                      // 000000002B48: C0060900 00000080
	s_load_dwordx2 s[44:45], s[0:1], 0x90                      // 000000002B50: C0060B00 00000090
	s_load_dwordx2 s[40:41], s[0:1], 0xa0                      // 000000002B58: C0060A00 000000A0
	s_load_dwordx2 s[46:47], s[0:1], 0xb0                      // 000000002B60: C0060B80 000000B0
	s_load_dword s64, s[0:1], 0xc0                             // 000000002B68: C0021000 000000C0
	s_load_dword s65, s[0:1], 0xd0                             // 000000002B70: C0021040 000000D0
	s_load_dword s66, s[0:1], 0xe0                             // 000000002B78: C0021080 000000E0
	s_load_dword s67, s[0:1], 0xf0                             // 000000002B80: C00210C0 000000F0
	s_load_dword s68, s[0:1], 0x100                            // 000000002B88: C0021100 00000100
	s_load_dword s69, s[0:1], 0x110                            // 000000002B90: C0021140 00000110
	s_load_dword s70, s[0:1], 0x120                            // 000000002B98: C0021180 00000120
	s_load_dword s71, s[0:1], 0x130                            // 000000002BA0: C00211C0 00000130
	s_load_dword s72, s[0:1], 0x140                            // 000000002BA8: C0021200 00000140
	s_load_dword s73, s[0:1], 0x150                            // 000000002BB0: C0021240 00000150
	s_load_dword s74, s[0:1], 0x160                            // 000000002BB8: C0021280 00000160
	s_load_dword s75, s[0:1], 0x170                            // 000000002BC0: C00212C0 00000170
	s_load_dword s76, s[0:1], 0x180                            // 000000002BC8: C0021300 00000180
	s_load_dword s63, s[0:1], 0x190                            // 000000002BD0: C0020FC0 00000190
	v_lshrrev_b32_e32 v1, 10, v0                               // 000000002BD8: 2002008A
	v_lshrrev_b32_e32 v2, 10, v1                               // 000000002BDC: 2004028A
	v_and_b32_e32 v2, 0x3ff, v2                                // 000000002BE0: 260404FF 000003FF
	v_and_b32_e32 v1, 0x3ff, v1                                // 000000002BE8: 260202FF 000003FF
	v_and_b32_e32 v0, 0x3ff, v0                                // 000000002BF0: 260000FF 000003FF
	v_lshrrev_b32_e32 v3, 6, v0                                // 000000002BF8: 20060086
	v_and_b32_e32 v0, 63, v0                                   // 000000002BFC: 260000BF
	s_mov_b32 s2, s2                                           // 000000002C00: BE820002
	s_mov_b32 s3, s3                                           // 000000002C04: BE830003
	s_mov_b32 s4, s4                                           // 000000002C08: BE840004
	v_readfirstlane_b32 s7, v3                                 // 000000002C0C: 7E0E0503
	s_waitcnt lgkmcnt(0)                                       // 000000002C10: BF8CC07F
	s_and_b32 s51, s51, 0xffff                                 // 000000002C14: 8633FF33 0000FFFF
	s_load_dword s50, s[50:51], 0x0                            // 000000002C1C: C0020C99 00000000
	s_and_b32 s45, s45, 0xffff                                 // 000000002C24: 862DFF2D 0000FFFF
	s_and_b32 s47, s47, 0xffff                                 // 000000002C2C: 862FFF2F 0000FFFF
	s_and_b32 s9, s9, 0xffff                                   // 000000002C34: 8609FF09 0000FFFF
	s_mul_i32 s60, s66, s68                                    // 000000002C3C: 923C4442
	s_mul_i32 s60, s63, s60                                    // 000000002C40: 923C3C3F
	s_mul_i32 s61, s66, 4                                      // 000000002C44: 923D8442
	s_mul_i32 s61, s63, s61                                    // 000000002C48: 923D3D3F
	s_mov_b32 s22, s60                                         // 000000002C4C: BE96003C
	s_mov_b32 s26, 0x80000000                                  // 000000002C50: BE9A00FF 80000000
	s_mov_b32 s14, 0x80000000                                  // 000000002C58: BE8E00FF 80000000
	s_mov_b32 s42, 0x80000000                                  // 000000002C60: BEAA00FF 80000000
	s_mov_b32 s30, s61                                         // 000000002C68: BE9E003D
	s_mov_b32 s34, 0x800                                       // 000000002C6C: BEA200FF 00000800
	s_mov_b32 s38, 0x800                                       // 000000002C74: BEA600FF 00000800
	s_mov_b32 s18, 0x80000000                                  // 000000002C7C: BE9200FF 80000000
	s_mov_b32 s23, 0x20000                                     // 000000002C84: BE9700FF 00020000
	s_mov_b32 s27, 0x20000                                     // 000000002C8C: BE9B00FF 00020000
	s_mov_b32 s15, 0x20000                                     // 000000002C94: BE8F00FF 00020000
	s_mov_b32 s43, 0x20000                                     // 000000002C9C: BEAB00FF 00020000
	s_mov_b32 s31, 0x20000                                     // 000000002CA4: BE9F00FF 00020000
	s_mov_b32 s35, 0x20000                                     // 000000002CAC: BEA300FF 00020000
	s_mov_b32 s39, 0x20000                                     // 000000002CB4: BEA700FF 00020000
	s_mov_b32 s19, 0x20000                                     // 000000002CBC: BE9300FF 00020000
	s_and_b32 s21, s21, 0xffff                                 // 000000002CC4: 8615FF15 0000FFFF
	s_and_b32 s25, s25, 0xffff                                 // 000000002CCC: 8619FF19 0000FFFF
	s_and_b32 s13, s13, 0xffff                                 // 000000002CD4: 860DFF0D 0000FFFF
	s_and_b32 s41, s41, 0xffff                                 // 000000002CDC: 8629FF29 0000FFFF
	s_and_b32 s29, s29, 0xffff                                 // 000000002CE4: 861DFF1D 0000FFFF
	s_and_b32 s33, s33, 0xffff                                 // 000000002CEC: 8621FF21 0000FFFF
	s_and_b32 s37, s37, 0xffff                                 // 000000002CF4: 8625FF25 0000FFFF
	s_and_b32 s17, s17, 0xffff                                 // 000000002CFC: 8611FF11 0000FFFF
	s_or_b32 s21, s21, 0x40000                                 // 000000002D04: 8715FF15 00040000
	s_or_b32 s25, s25, 0x40000                                 // 000000002D0C: 8719FF19 00040000
	s_or_b32 s13, s13, 0x40000                                 // 000000002D14: 870DFF0D 00040000
	s_or_b32 s41, s41, 0x40000                                 // 000000002D1C: 8729FF29 00040000
	s_or_b32 s29, s29, 0x40000                                 // 000000002D24: 871DFF1D 00040000
	s_or_b32 s33, s33, 0x40000                                 // 000000002D2C: 8721FF21 00040000
	s_or_b32 s37, s37, 0x40000                                 // 000000002D34: 8725FF25 00040000
	s_or_b32 s17, s17, 0x40000                                 // 000000002D3C: 8711FF11 00040000
	v_accvgpr_write_b32 a255, 0                                // 000000002D44: D3D940FF 18000080
	v_mov_b32_e32 v255, 0                                      // 000000002D4C: 7FFE0280
	s_waitcnt lgkmcnt(0)                                       // 000000002D50: BF8CC07F
	s_mul_i32 s60, s3, 32                                      // 000000002D54: 923CA003
	s_cmp_lt_i32 s60, s50                                      // 000000002D58: BF04323C
	s_cbranch_scc0 label_236D                                  // 000000002D5C: BF8422D5
	s_mov_b32 s80, 0                                           // 000000002D60: BED00080
	s_mov_b32 s81, s64                                         // 000000002D64: BED10040
	s_mul_i32 s60, s3, 4                                       // 000000002D68: 923C8403
	s_add_u32 s46, s60, s46                                    // 000000002D6C: 802E2E3C
	s_addc_u32 s47, 0, s47                                     // 000000002D70: 822F2F80
	s_load_dword s5, s[46:47], 0x0                             // 000000002D74: C0020157 00000000
	s_mul_i32 s60, s3, 32                                      // 000000002D7C: 923CA003
	s_mul_i32 s60, 4, s60                                      // 000000002D80: 923C3C84
	v_and_b32_e32 v50, 15, v0                                  // 000000002D84: 2664008F
	v_lshlrev_b32_e32 v50, 2, v50                              // 000000002D88: 24646482
	v_add_u32_e32 v50, s60, v50                                // 000000002D8C: 6864643C
	v_mov_b32_e32 v51, 0                                       // 000000002D90: 7E660280
	global_load_dword v6, v50, s[44:45]                        // 000000002D94: DC508000 062C0032
	v_add_u32_e32 v50, 64, v50                                 // 000000002D9C: 686464C0
	global_load_dword v7, v50, s[44:45]                        // 000000002DA0: DC508000 072C0032
	s_mul_i32 s60, s3, 32                                      // 000000002DA8: 923CA003
	s_add_u32 s60, s7, s60                                     // 000000002DAC: 803C3C07
	s_mul_i32 s60, 4, s60                                      // 000000002DB0: 923C3C84
	s_add_u32 s44, s60, s44                                    // 000000002DB4: 802C2C3C
	s_addc_u32 s45, 0, s45                                     // 000000002DB8: 822D2D80
	s_load_dword s82, s[44:45], 0x0                            // 000000002DBC: C0021496 00000000
	s_load_dword s83, s[44:45], 0x10                           // 000000002DC4: C00214D6 00000010
	s_load_dword s84, s[44:45], 0x20                           // 000000002DCC: C0021516 00000020
	s_load_dword s85, s[44:45], 0x30                           // 000000002DD4: C0021556 00000030
	s_load_dword s86, s[44:45], 0x40                           // 000000002DDC: C0021596 00000040
	s_load_dword s87, s[44:45], 0x50                           // 000000002DE4: C00215D6 00000050
	s_load_dword s88, s[44:45], 0x60                           // 000000002DEC: C0021616 00000060
	s_load_dword s89, s[44:45], 0x70                           // 000000002DF4: C0021656 00000070
	s_waitcnt lgkmcnt(0)                                       // 000000002DFC: BF8CC07F
	v_lshlrev_b32_e32 v50, 2, v0                               // 000000002E00: 24640082
	s_lshr_b32 s61, s82, 24                                    // 000000002E04: 8F3D9852
	s_mul_i32 s61, s61, s68                                    // 000000002E08: 923D443D
	s_mul_i32 s61, s61, s66                                    // 000000002E0C: 923D423D
	s_and_b32 s82, s82, 0xffffff                               // 000000002E10: 8652FF52 00FFFFFF
	s_mul_i32 s60, s82, s68                                    // 000000002E18: 923C4452
	s_add_u32 s60, s61, s60                                    // 000000002E1C: 803C3C3D
	v_add_u32_e64 v26, v50, s60                                // 000000002E20: D134001A 00007932
	s_lshr_b32 s61, s83, 24                                    // 000000002E28: 8F3D9853
	s_mul_i32 s61, s61, s68                                    // 000000002E2C: 923D443D
	s_mul_i32 s61, s61, s66                                    // 000000002E30: 923D423D
	s_and_b32 s83, s83, 0xffffff                               // 000000002E34: 8653FF53 00FFFFFF
	s_mul_i32 s60, s83, s68                                    // 000000002E3C: 923C4453
	s_add_u32 s60, s61, s60                                    // 000000002E40: 803C3C3D
	v_add_u32_e64 v27, v50, s60                                // 000000002E44: D134001B 00007932
	s_lshr_b32 s61, s84, 24                                    // 000000002E4C: 8F3D9854
	s_mul_i32 s61, s61, s68                                    // 000000002E50: 923D443D
	s_mul_i32 s61, s61, s66                                    // 000000002E54: 923D423D
	s_and_b32 s84, s84, 0xffffff                               // 000000002E58: 8654FF54 00FFFFFF
	s_mul_i32 s60, s84, s68                                    // 000000002E60: 923C4454
	s_add_u32 s60, s61, s60                                    // 000000002E64: 803C3C3D
	v_add_u32_e64 v28, v50, s60                                // 000000002E68: D134001C 00007932
	s_lshr_b32 s61, s85, 24                                    // 000000002E70: 8F3D9855
	s_mul_i32 s61, s61, s68                                    // 000000002E74: 923D443D
	s_mul_i32 s61, s61, s66                                    // 000000002E78: 923D423D
	s_and_b32 s85, s85, 0xffffff                               // 000000002E7C: 8655FF55 00FFFFFF
	s_mul_i32 s60, s85, s68                                    // 000000002E84: 923C4455
	s_add_u32 s60, s61, s60                                    // 000000002E88: 803C3C3D
	v_add_u32_e64 v29, v50, s60                                // 000000002E8C: D134001D 00007932
	s_lshr_b32 s61, s86, 24                                    // 000000002E94: 8F3D9856
	s_mul_i32 s61, s61, s68                                    // 000000002E98: 923D443D
	s_mul_i32 s61, s61, s66                                    // 000000002E9C: 923D423D
	s_and_b32 s86, s86, 0xffffff                               // 000000002EA0: 8656FF56 00FFFFFF
	s_mul_i32 s60, s86, s68                                    // 000000002EA8: 923C4456
	s_add_u32 s60, s61, s60                                    // 000000002EAC: 803C3C3D
	v_add_u32_e64 v30, v50, s60                                // 000000002EB0: D134001E 00007932
	s_lshr_b32 s61, s87, 24                                    // 000000002EB8: 8F3D9857
	s_mul_i32 s61, s61, s68                                    // 000000002EBC: 923D443D
	s_mul_i32 s61, s61, s66                                    // 000000002EC0: 923D423D
	s_and_b32 s87, s87, 0xffffff                               // 000000002EC4: 8657FF57 00FFFFFF
	s_mul_i32 s60, s87, s68                                    // 000000002ECC: 923C4457
	s_add_u32 s60, s61, s60                                    // 000000002ED0: 803C3C3D
	v_add_u32_e64 v31, v50, s60                                // 000000002ED4: D134001F 00007932
	s_lshr_b32 s61, s88, 24                                    // 000000002EDC: 8F3D9858
	s_mul_i32 s61, s61, s68                                    // 000000002EE0: 923D443D
	s_mul_i32 s61, s61, s66                                    // 000000002EE4: 923D423D
	s_and_b32 s88, s88, 0xffffff                               // 000000002EE8: 8658FF58 00FFFFFF
	s_mul_i32 s60, s88, s68                                    // 000000002EF0: 923C4458
	s_add_u32 s60, s61, s60                                    // 000000002EF4: 803C3C3D
	v_add_u32_e64 v32, v50, s60                                // 000000002EF8: D1340020 00007932
	s_lshr_b32 s61, s89, 24                                    // 000000002F00: 8F3D9859
	s_mul_i32 s61, s61, s68                                    // 000000002F04: 923D443D
	s_mul_i32 s61, s61, s66                                    // 000000002F08: 923D423D
	s_and_b32 s89, s89, 0xffffff                               // 000000002F0C: 8659FF59 00FFFFFF
	s_mul_i32 s60, s89, s68                                    // 000000002F14: 923C4459
	s_add_u32 s60, s61, s60                                    // 000000002F18: 803C3C3D
	v_add_u32_e64 v33, v50, s60                                // 000000002F1C: D1340021 00007932
	v_lshlrev_b32_e32 v50, 2, v0                               // 000000002F24: 24640082
	s_mul_i32 s60, s82, s71                                    // 000000002F28: 923C4752
	v_add_u32_e64 v80, v50, s60                                // 000000002F2C: D1340050 00007932
	v_mov_b32_e32 v81, 0                                       // 000000002F34: 7EA20280
	s_mul_i32 s60, s83, s71                                    // 000000002F38: 923C4753
	v_add_u32_e64 v82, v50, s60                                // 000000002F3C: D1340052 00007932
	v_mov_b32_e32 v83, 0                                       // 000000002F44: 7EA60280
	s_mul_i32 s60, s84, s71                                    // 000000002F48: 923C4754
	v_add_u32_e64 v84, v50, s60                                // 000000002F4C: D1340054 00007932
	v_mov_b32_e32 v85, 0                                       // 000000002F54: 7EAA0280
	s_mul_i32 s60, s85, s71                                    // 000000002F58: 923C4755
	v_add_u32_e64 v86, v50, s60                                // 000000002F5C: D1340056 00007932
	v_mov_b32_e32 v87, 0                                       // 000000002F64: 7EAE0280
	s_mul_i32 s60, s86, s71                                    // 000000002F68: 923C4756
	v_add_u32_e64 v88, v50, s60                                // 000000002F6C: D1340058 00007932
	v_mov_b32_e32 v89, 0                                       // 000000002F74: 7EB20280
	s_mul_i32 s60, s87, s71                                    // 000000002F78: 923C4757
	v_add_u32_e64 v90, v50, s60                                // 000000002F7C: D134005A 00007932
	v_mov_b32_e32 v91, 0                                       // 000000002F84: 7EB60280
	s_mul_i32 s60, s88, s71                                    // 000000002F88: 923C4758
	v_add_u32_e64 v92, v50, s60                                // 000000002F8C: D134005C 00007932
	v_mov_b32_e32 v93, 0                                       // 000000002F94: 7EBA0280
	s_mul_i32 s60, s89, s71                                    // 000000002F98: 923C4759
	v_add_u32_e64 v94, v50, s60                                // 000000002F9C: D134005E 00007932
	v_mov_b32_e32 v95, 0                                       // 000000002FA4: 7EBE0280
	s_mul_i32 s60, s7, 0x820                                   // 000000002FA8: 923CFF07 00000820
	s_add_u32 s50, 0, s60                                      // 000000002FB0: 80323C80
	s_add_u32 s51, 0x2080, s50                                 // 000000002FB4: 803332FF 00002080
	v_lshrrev_b32_e32 v50, 4, v0                               // 000000002FBC: 20640084
	v_lshlrev_b32_e32 v51, 2, v50                              // 000000002FC0: 24666482
	v_and_b32_e32 v50, 15, v0                                  // 000000002FC4: 2664008F
	v_lshrrev_b32_e32 v52, 2, v50                              // 000000002FC8: 20686482
	v_lshlrev_b32_e32 v52, 6, v52                              // 000000002FCC: 24686886
	v_add_u32_e32 v51, v52, v51                                // 000000002FD0: 68666734
	v_and_b32_e32 v50, 3, v0                                   // 000000002FD4: 26640083
	v_mul_i32_i24_e32 v52, 0x208, v50                          // 000000002FD8: 0C6864FF 00000208
	v_add_u32_e32 v51, v52, v51                                // 000000002FE0: 68666734
	v_lshlrev_b32_e32 v2, 2, v51                               // 000000002FE4: 24046682
	s_mul_i32 s60, s2, 0x200                                   // 000000002FE8: 923CFF02 00000200
	s_mul_i32 s60, s60, s69                                    // 000000002FF0: 923C453C
	s_mul_i32 s61, s5, s72                                     // 000000002FF4: 923D4805
	s_add_u32 s60, s61, s60                                    // 000000002FF8: 803C3C3D
	s_add_u32 s24, s60, s24                                    // 000000002FFC: 8018183C
	s_addc_u32 s25, 0, s25                                     // 000000003000: 82191980
	s_mul_i32 s60, s7, 16                                      // 000000003004: 923C9007
	s_mul_i32 s60, s60, s69                                    // 000000003008: 923C453C
	v_lshlrev_b32_e32 v34, 4, v0                               // 00000000300C: 24440084
	v_add_u32_e32 v34, s60, v34                                // 000000003010: 6844443C
	s_mul_i32 s60, 64, s69                                     // 000000003014: 923C45C0
	v_add_u32_e32 v35, s60, v34                                // 000000003018: 6846443C
	v_add_u32_e32 v36, s60, v35                                // 00000000301C: 6848463C
	v_add_u32_e32 v37, s60, v36                                // 000000003020: 684A483C
	v_add_u32_e32 v38, s60, v37                                // 000000003024: 684C4A3C
	v_add_u32_e32 v39, s60, v38                                // 000000003028: 684E4C3C
	v_add_u32_e32 v40, s60, v39                                // 00000000302C: 68504E3C
	v_add_u32_e32 v41, s60, v40                                // 000000003030: 6852503C
	s_mul_i32 s60, s2, 0x2000                                  // 000000003034: 923CFF02 00002000
	s_mul_i32 s61, s5, s73                                     // 00000000303C: 923D4905
	s_add_u32 s60, s61, s60                                    // 000000003040: 803C3C3D
	s_add_u32 s12, s60, s12                                    // 000000003044: 800C0C3C
	s_addc_u32 s13, 0, s13                                     // 000000003048: 820D0D80
	s_mul_i32 s60, s7, 16                                      // 00000000304C: 923C9007
	s_mul_i32 s60, s60, s70                                    // 000000003050: 923C463C
	v_lshlrev_b32_e32 v42, 4, v0                               // 000000003054: 24540084
	v_add_u32_e32 v42, s60, v42                                // 000000003058: 6854543C
	s_mul_i32 s60, 64, s70                                     // 00000000305C: 923C46C0
	v_add_u32_e32 v43, s60, v42                                // 000000003060: 6856543C
	v_add_u32_e32 v44, s60, v43                                // 000000003064: 6858563C
	v_add_u32_e32 v45, s60, v44                                // 000000003068: 685A583C
	s_mul_i32 s60, s3, 32                                      // 00000000306C: 923CA003
	s_mul_i32 s60, 4, s60                                      // 000000003070: 923C3C84
	s_add_u32 s40, s60, s40                                    // 000000003074: 8028283C
	s_addc_u32 s41, 0, s41                                     // 000000003078: 82292980
	v_and_b32_e32 v50, 15, v0                                  // 00000000307C: 2664008F
	v_lshlrev_b32_e32 v8, 2, v50                               // 000000003080: 24106482
	v_add_u32_e32 v9, 64, v8                                   // 000000003084: 681210C0
	v_lshrrev_b32_e32 v50, 4, v0                               // 000000003088: 20640084
	v_lshlrev_b32_e32 v51, 2, v50                              // 00000000308C: 24666482
	v_and_b32_e32 v50, 15, v0                                  // 000000003090: 2664008F
	v_lshrrev_b32_e32 v52, 2, v50                              // 000000003094: 20686482
	v_lshlrev_b32_e32 v52, 6, v52                              // 000000003098: 24686886
	v_add_u32_e32 v51, v52, v51                                // 00000000309C: 68666734
	v_and_b32_e32 v50, 3, v0                                   // 0000000030A0: 26640083
	v_add_u32_e32 v51, v50, v51                                // 0000000030A4: 68666732
	v_lshlrev_b32_e32 v10, 2, v51                              // 0000000030A8: 24146682
	v_add_u32_e32 v11, 0x400, v10                              // 0000000030AC: 681614FF 00000400
	s_mul_i32 s60, s7, 16                                      // 0000000030B4: 923C9007
	s_mul_i32 s60, s60, 4                                      // 0000000030B8: 923C843C
	v_add_u32_e32 v10, s60, v10                                // 0000000030BC: 6814143C
	v_add_u32_e32 v11, s60, v11                                // 0000000030C0: 6816163C
	v_mov_b32_e32 v5, v10                                      // 0000000030C4: 7E0A030A
	s_mul_i32 s60, s2, 0x200                                   // 0000000030C8: 923CFF02 00000200
	s_mul_i32 s60, s60, 4                                      // 0000000030D0: 923C843C
	s_mul_i32 s61, s5, s74                                     // 0000000030D4: 923D4A05
	s_add_u32 s61, s61, s60                                    // 0000000030D8: 803D3C3D
	s_mul_i32 s62, s5, s76                                     // 0000000030DC: 923E4C05
	s_add_u32 s62, s62, s60                                    // 0000000030E0: 803E3C3E
	s_add_u32 s32, s61, s32                                    // 0000000030E4: 8020203D
	s_addc_u32 s33, 0, s33                                     // 0000000030E8: 82212180
	s_add_u32 s36, s62, s36                                    // 0000000030EC: 8024243E
	s_addc_u32 s37, 0, s37                                     // 0000000030F0: 82252580
	s_mul_i32 s60, s5, s75                                     // 0000000030F4: 923C4B05
	s_add_u32 s16, s60, s16                                    // 0000000030F8: 8010103C
	s_addc_u32 s17, 0, s17                                     // 0000000030FC: 82111180
	s_mov_b32 s57, 0x100                                       // 000000003100: BEB900FF 00000100
	s_mov_b32 s58, 0x1000                                      // 000000003108: BEBA00FF 00001000
	s_mov_b32 s79, 0x400                                       // 000000003110: BECF00FF 00000400
	s_mov_b32 s59, 0x200                                       // 000000003118: BEBB00FF 00000200
	s_mul_i32 s60, s70, 0x100                                  // 000000003120: 923CFF46 00000100
	s_mov_b32 s78, 0x400                                       // 000000003128: BECE00FF 00000400
	s_mul_i32 s61, s78, 7                                      // 000000003130: 923D874E
	s_sub_u32 s56, s60, s61                                    // 000000003134: 80B83D3C
	s_mov_b32 s52, 0x7060302                                   // 000000003138: BEB400FF 07060302
	s_mov_b32 s53, 0x400                                       // 000000003140: BEB500FF 00000400
	s_mov_b32 s54, 0x40100                                     // 000000003148: BEB600FF 00040100
	s_mov_b32 s55, 0x4020100                                   // 000000003150: BEB700FF 04020100
	s_mov_b32 s6, 0x3fb8aa3b                                   // 000000003158: BE8600FF 3FB8AA3B
	s_mov_b32 s77, 0xbd92220c                                  // 000000003160: BECD00FF BD92220C
	s_mov_b32 m0, s50                                          // 000000003168: BEFC0032
	v_mov_b32_e32 v1, 0xbfcc4231                               // 00000000316C: 7E0202FF BFCC4231
	v_mov_b32_e32 v47, 0xffff0000                              // 000000003174: 7E5E02FF FFFF0000
	v_mov_b32_e32 v48, 0x7fff0000                              // 00000000317C: 7E6002FF 7FFF0000
	v_mov_b32_e32 v49, 0x7fff                                  // 000000003184: 7E6202FF 00007FFF
	s_waitcnt vmcnt(0) expcnt(0) lgkmcnt(0)                    // 00000000318C: BF8C0000
	v_lshrrev_b32_e32 v50, 24, v6                              // 000000003190: 20640C98
	v_mul_i32_i24_e32 v50, s66, v50                            // 000000003194: 0C646442
	v_and_b32_e32 v51, 0xffffff, v6                            // 000000003198: 26660CFF 00FFFFFF
	v_add_u32_e32 v6, v50, v51                                 // 0000000031A0: 680C6732
	v_lshrrev_b32_e32 v50, 24, v7                              // 0000000031A4: 20640E98
	v_mul_i32_i24_e32 v50, s66, v50                            // 0000000031A8: 0C646442
	v_and_b32_e32 v51, 0xffffff, v7                            // 0000000031AC: 26660EFF 00FFFFFF
	v_add_u32_e32 v7, v50, v51                                 // 0000000031B4: 680E6732
	v_lshlrev_b32_e32 v6, 2, v6                                // 0000000031B8: 240C0C82
	v_lshlrev_b32_e32 v7, 2, v7                                // 0000000031BC: 240E0E82
	buffer_load_dword v14, v6, s[28:31], 0 offen               // 0000000031C0: E0501000 80070E06
	buffer_load_dword v15, v7, s[28:31], 0 offen               // 0000000031C8: E0501000 80070F07
	buffer_load_dword v16, v10, s[32:35], 0 offen              // 0000000031D0: E0501000 8008100A
	buffer_load_dword v17, v11, s[32:35], 0 offen              // 0000000031D8: E0501000 8008110B
	buffer_load_dword v18, v10, s[36:39], 0 offen              // 0000000031E0: E0501000 8009120A
	buffer_load_dword v19, v11, s[36:39], 0 offen              // 0000000031E8: E0501000 8009130B
	buffer_load_dword v20, v8, s[40:43], 0 offen               // 0000000031F0: E0501000 800A1408
	buffer_load_dword v21, v9, s[40:43], 0 offen               // 0000000031F8: E0501000 800A1509
	buffer_load_dword v26, s[20:23], 0 offen lds               // 000000003200: E0511000 8005001A
	s_add_u32 m0, 0x100, s50                                   // 000000003208: 807C32FF 00000100
	buffer_load_dword v27, s[20:23], 0 offen lds               // 000000003210: E0511000 8005001B
	s_add_u32 m0, 0x200, s50                                   // 000000003218: 807C32FF 00000200
	buffer_load_dword v28, s[20:23], 0 offen lds               // 000000003220: E0511000 8005001C
	s_add_u32 m0, 0x300, s50                                   // 000000003228: 807C32FF 00000300
	buffer_load_dword v29, s[20:23], 0 offen lds               // 000000003230: E0511000 8005001D
	s_add_u32 m0, 0x400, s50                                   // 000000003238: 807C32FF 00000400
	buffer_load_dword v30, s[20:23], 0 offen lds               // 000000003240: E0511000 8005001E
	s_add_u32 m0, 0x500, s50                                   // 000000003248: 807C32FF 00000500
	buffer_load_dword v31, s[20:23], 0 offen lds               // 000000003250: E0511000 8005001F
	s_add_u32 m0, 0x600, s50                                   // 000000003258: 807C32FF 00000600
	buffer_load_dword v32, s[20:23], 0 offen lds               // 000000003260: E0511000 80050020
	s_add_u32 m0, 0x700, s50                                   // 000000003268: 807C32FF 00000700
	buffer_load_dword v33, s[20:23], 0 offen lds               // 000000003270: E0511000 80050021
	s_add_u32 m0, 0, s51                                       // 000000003278: 807C3380
	s_add_u32 s20, s57, s20                                    // 00000000327C: 80141439
	s_addc_u32 s21, 0, s21                                     // 000000003280: 82151580
	buffer_load_dword v26, s[20:23], 0 offen lds               // 000000003284: E0511000 8005001A
	s_add_u32 m0, 0x100, s51                                   // 00000000328C: 807C33FF 00000100
	buffer_load_dword v27, s[20:23], 0 offen lds               // 000000003294: E0511000 8005001B
	s_add_u32 m0, 0x200, s51                                   // 00000000329C: 807C33FF 00000200
	buffer_load_dword v28, s[20:23], 0 offen lds               // 0000000032A4: E0511000 8005001C
	s_add_u32 m0, 0x300, s51                                   // 0000000032AC: 807C33FF 00000300
	buffer_load_dword v29, s[20:23], 0 offen lds               // 0000000032B4: E0511000 8005001D
	s_add_u32 m0, 0x400, s51                                   // 0000000032BC: 807C33FF 00000400
	buffer_load_dword v30, s[20:23], 0 offen lds               // 0000000032C4: E0511000 8005001E
	s_add_u32 m0, 0x500, s51                                   // 0000000032CC: 807C33FF 00000500
	buffer_load_dword v31, s[20:23], 0 offen lds               // 0000000032D4: E0511000 8005001F
	s_add_u32 m0, 0x600, s51                                   // 0000000032DC: 807C33FF 00000600
	buffer_load_dword v32, s[20:23], 0 offen lds               // 0000000032E4: E0511000 80050020
	s_add_u32 m0, 0x700, s51                                   // 0000000032EC: 807C33FF 00000700
	buffer_load_dword v33, s[20:23], 0 offen lds               // 0000000032F4: E0511000 80050021
	s_add_u32 m0, 0, s50                                       // 0000000032FC: 807C3280
	s_add_u32 s20, s57, s20                                    // 000000003300: 80141439
	s_addc_u32 s21, 0, s21                                     // 000000003304: 82151580
	buffer_load_dwordx4 a[0:3], v34, s[24:27], 0 offen         // 000000003308: E05C1000 80860022
	buffer_load_dwordx4 a[4:7], v34, s[24:27], 0 offen offset:1024// 000000003310: E05C1400 80860422
	buffer_load_dwordx4 a[8:11], v34, s[24:27], 0 offen offset:2048// 000000003318: E05C1800 80860822
	buffer_load_dwordx4 a[12:15], v34, s[24:27], 0 offen offset:3072// 000000003320: E05C1C00 80860C22
	buffer_load_dwordx4 a[16:19], v35, s[24:27], 0 offen       // 000000003328: E05C1000 80861023
	buffer_load_dwordx4 a[20:23], v35, s[24:27], 0 offen offset:1024// 000000003330: E05C1400 80861423
	buffer_load_dwordx4 a[24:27], v35, s[24:27], 0 offen offset:2048// 000000003338: E05C1800 80861823
	buffer_load_dwordx4 a[28:31], v35, s[24:27], 0 offen offset:3072// 000000003340: E05C1C00 80861C23
	buffer_load_dwordx4 a[32:35], v36, s[24:27], 0 offen       // 000000003348: E05C1000 80862024
	buffer_load_dwordx4 a[36:39], v36, s[24:27], 0 offen offset:1024// 000000003350: E05C1400 80862424
	buffer_load_dwordx4 a[40:43], v36, s[24:27], 0 offen offset:2048// 000000003358: E05C1800 80862824
	buffer_load_dwordx4 a[44:47], v36, s[24:27], 0 offen offset:3072// 000000003360: E05C1C00 80862C24
	buffer_load_dwordx4 a[48:51], v37, s[24:27], 0 offen       // 000000003368: E05C1000 80863025
	buffer_load_dwordx4 a[52:55], v37, s[24:27], 0 offen offset:1024// 000000003370: E05C1400 80863425
	buffer_load_dwordx4 a[56:59], v37, s[24:27], 0 offen offset:2048// 000000003378: E05C1800 80863825
	buffer_load_dwordx4 a[60:63], v37, s[24:27], 0 offen offset:3072// 000000003380: E05C1C00 80863C25
	buffer_load_dwordx4 a[64:67], v38, s[24:27], 0 offen       // 000000003388: E05C1000 80864026
	buffer_load_dwordx4 a[68:71], v38, s[24:27], 0 offen offset:1024// 000000003390: E05C1400 80864426
	buffer_load_dwordx4 a[72:75], v38, s[24:27], 0 offen offset:2048// 000000003398: E05C1800 80864826
	buffer_load_dwordx4 a[76:79], v38, s[24:27], 0 offen offset:3072// 0000000033A0: E05C1C00 80864C26
	buffer_load_dwordx4 a[80:83], v39, s[24:27], 0 offen       // 0000000033A8: E05C1000 80865027
	buffer_load_dwordx4 a[84:87], v39, s[24:27], 0 offen offset:1024// 0000000033B0: E05C1400 80865427
	buffer_load_dwordx4 a[88:91], v39, s[24:27], 0 offen offset:2048// 0000000033B8: E05C1800 80865827
	buffer_load_dwordx4 a[92:95], v39, s[24:27], 0 offen offset:3072// 0000000033C0: E05C1C00 80865C27
	buffer_load_dwordx4 a[96:99], v40, s[24:27], 0 offen       // 0000000033C8: E05C1000 80866028
	buffer_load_dwordx4 a[100:103], v40, s[24:27], 0 offen offset:1024// 0000000033D0: E05C1400 80866428
	buffer_load_dwordx4 a[104:107], v40, s[24:27], 0 offen offset:2048// 0000000033D8: E05C1800 80866828
	buffer_load_dwordx4 a[108:111], v40, s[24:27], 0 offen offset:3072// 0000000033E0: E05C1C00 80866C28
	buffer_load_dwordx4 a[112:115], v41, s[24:27], 0 offen     // 0000000033E8: E05C1000 80867029
	buffer_load_dwordx4 a[116:119], v41, s[24:27], 0 offen offset:1024// 0000000033F0: E05C1400 80867429
	buffer_load_dwordx4 a[120:123], v41, s[24:27], 0 offen offset:2048// 0000000033F8: E05C1800 80867829
	buffer_load_dwordx4 a[124:127], v41, s[24:27], 0 offen offset:3072// 000000003400: E05C1C00 80867C29
	s_add_u32 s24, s58, s24                                    // 000000003408: 8018183A
	s_addc_u32 s25, 0, s25                                     // 00000000340C: 82191980
	v_mov_b32_e32 v128, 0                                      // 000000003410: 7F000280
	v_mov_b32_e32 v129, 0                                      // 000000003414: 7F020280
	v_mov_b32_e32 v130, 0                                      // 000000003418: 7F040280
	v_mov_b32_e32 v131, 0                                      // 00000000341C: 7F060280
	v_mov_b32_e32 v132, 0                                      // 000000003420: 7F080280
	v_mov_b32_e32 v133, 0                                      // 000000003424: 7F0A0280
	v_mov_b32_e32 v134, 0                                      // 000000003428: 7F0C0280
	v_mov_b32_e32 v135, 0                                      // 00000000342C: 7F0E0280
	v_mov_b32_e32 v136, 0                                      // 000000003430: 7F100280
	v_mov_b32_e32 v137, 0                                      // 000000003434: 7F120280
	v_mov_b32_e32 v138, 0                                      // 000000003438: 7F140280
	v_mov_b32_e32 v139, 0                                      // 00000000343C: 7F160280
	v_mov_b32_e32 v140, 0                                      // 000000003440: 7F180280
	v_mov_b32_e32 v141, 0                                      // 000000003444: 7F1A0280
	v_mov_b32_e32 v142, 0                                      // 000000003448: 7F1C0280
	v_mov_b32_e32 v143, 0                                      // 00000000344C: 7F1E0280
	v_mov_b32_e32 v144, 0                                      // 000000003450: 7F200280
	v_mov_b32_e32 v145, 0                                      // 000000003454: 7F220280
	v_mov_b32_e32 v146, 0                                      // 000000003458: 7F240280
	v_mov_b32_e32 v147, 0                                      // 00000000345C: 7F260280
	v_mov_b32_e32 v148, 0                                      // 000000003460: 7F280280
	v_mov_b32_e32 v149, 0                                      // 000000003464: 7F2A0280
	v_mov_b32_e32 v150, 0                                      // 000000003468: 7F2C0280
	v_mov_b32_e32 v151, 0                                      // 00000000346C: 7F2E0280
	v_mov_b32_e32 v152, 0                                      // 000000003470: 7F300280
	v_mov_b32_e32 v153, 0                                      // 000000003474: 7F320280
	v_mov_b32_e32 v154, 0                                      // 000000003478: 7F340280
	v_mov_b32_e32 v155, 0                                      // 00000000347C: 7F360280
	v_mov_b32_e32 v156, 0                                      // 000000003480: 7F380280
	v_mov_b32_e32 v157, 0                                      // 000000003484: 7F3A0280
	v_mov_b32_e32 v158, 0                                      // 000000003488: 7F3C0280
	v_mov_b32_e32 v159, 0                                      // 00000000348C: 7F3E0280
	v_mov_b32_e32 v160, 0                                      // 000000003490: 7F400280
	v_mov_b32_e32 v161, 0                                      // 000000003494: 7F420280
	v_mov_b32_e32 v162, 0                                      // 000000003498: 7F440280
	v_mov_b32_e32 v163, 0                                      // 00000000349C: 7F460280
	v_mov_b32_e32 v164, 0                                      // 0000000034A0: 7F480280
	v_mov_b32_e32 v165, 0                                      // 0000000034A4: 7F4A0280
	v_mov_b32_e32 v166, 0                                      // 0000000034A8: 7F4C0280
	v_mov_b32_e32 v167, 0                                      // 0000000034AC: 7F4E0280
	v_mov_b32_e32 v168, 0                                      // 0000000034B0: 7F500280
	v_mov_b32_e32 v169, 0                                      // 0000000034B4: 7F520280
	v_mov_b32_e32 v170, 0                                      // 0000000034B8: 7F540280
	v_mov_b32_e32 v171, 0                                      // 0000000034BC: 7F560280
	v_mov_b32_e32 v172, 0                                      // 0000000034C0: 7F580280
	v_mov_b32_e32 v173, 0                                      // 0000000034C4: 7F5A0280
	v_mov_b32_e32 v174, 0                                      // 0000000034C8: 7F5C0280
	v_mov_b32_e32 v175, 0                                      // 0000000034CC: 7F5E0280
	v_mov_b32_e32 v176, 0                                      // 0000000034D0: 7F600280
	v_mov_b32_e32 v177, 0                                      // 0000000034D4: 7F620280
	v_mov_b32_e32 v178, 0                                      // 0000000034D8: 7F640280
	v_mov_b32_e32 v179, 0                                      // 0000000034DC: 7F660280
	v_mov_b32_e32 v180, 0                                      // 0000000034E0: 7F680280
	v_mov_b32_e32 v181, 0                                      // 0000000034E4: 7F6A0280
	v_mov_b32_e32 v182, 0                                      // 0000000034E8: 7F6C0280
	v_mov_b32_e32 v183, 0                                      // 0000000034EC: 7F6E0280
	v_mov_b32_e32 v184, 0                                      // 0000000034F0: 7F700280
	v_mov_b32_e32 v185, 0                                      // 0000000034F4: 7F720280
	v_mov_b32_e32 v186, 0                                      // 0000000034F8: 7F740280
	v_mov_b32_e32 v187, 0                                      // 0000000034FC: 7F760280
	v_mov_b32_e32 v188, 0                                      // 000000003500: 7F780280
	v_mov_b32_e32 v189, 0                                      // 000000003504: 7F7A0280
	v_mov_b32_e32 v190, 0                                      // 000000003508: 7F7C0280
	v_mov_b32_e32 v191, 0                                      // 00000000350C: 7F7E0280
	v_lshrrev_b32_e32 v50, 4, v0                               // 000000003510: 20640084
	v_mul_i32_i24_e32 v3, 34, v50                              // 000000003514: 0C0664A2
	v_and_b32_e32 v50, 15, v0                                  // 000000003518: 2664008F
	v_mul_i32_i24_e32 v51, 2, v50                              // 00000000351C: 0C666482
	v_add_u32_e32 v3, v51, v3                                  // 000000003520: 68060733
	s_mul_i32 s60, s7, 0x88                                    // 000000003524: 923CFF07 00000088
	v_add_u32_e32 v3, s60, v3                                  // 00000000352C: 6806063C
	v_lshlrev_b32_e32 v3, 2, v3                                // 000000003530: 24060682
	v_lshrrev_b32_e32 v50, 1, v0                               // 000000003534: 20640081
	v_mul_i32_i24_e32 v4, 34, v50                              // 000000003538: 0C0864A2
	v_and_b32_e32 v51, 1, v0                                   // 00000000353C: 26660081
	v_add_u32_e32 v4, v51, v4                                  // 000000003540: 68080933
	s_mul_i32 s60, s7, 2                                       // 000000003544: 923C8207
	v_add_u32_e32 v4, s60, v4                                  // 000000003548: 6808083C
	v_lshlrev_b32_e32 v4, 2, v4                                // 00000000354C: 24080882
	s_waitcnt vmcnt(40)                                        // 000000003550: BF8C8F78
	s_barrier                                                  // 000000003554: BF8A0000
	ds_read_b128 v[192:195], v2                                // 000000003558: D9FE0000 C0000002
	ds_read_b128 v[196:199], v2 offset:64                      // 000000003560: D9FE0040 C4000002
	ds_read_b128 v[200:203], v2 offset:128                     // 000000003568: D9FE0080 C8000002
	ds_read_b128 v[204:207], v2 offset:192                     // 000000003570: D9FE00C0 CC000002
	ds_read_b128 v[208:211], v2 offset:1024                    // 000000003578: D9FE0400 D0000002
	ds_read_b128 v[212:215], v2 offset:1088                    // 000000003580: D9FE0440 D4000002
	ds_read_b128 v[216:219], v2 offset:1152                    // 000000003588: D9FE0480 D8000002
	ds_read_b128 v[220:223], v2 offset:1216                    // 000000003590: D9FE04C0 DC000002
	s_cmp_lt_i32 s7, 2                                         // 000000003598: BF048207
	s_cbranch_scc0 label_130C                                  // 00000000359C: BF841064

00000000000035a0 <label_02A8>:
	s_waitcnt vmcnt(24) lgkmcnt(0)                             // 0000000035A0: BF8C4078
	s_barrier                                                  // 0000000035A4: BF8A0000
	v_mfma_i32_16x16x32_i8 v[128:131], a[0:1], v[192:193], v[128:131]// 0000000035A8: D3D70080 0E038100
	v_mfma_i32_16x16x32_i8 v[128:131], a[2:3], v[194:195], v[128:131]// 0000000035B0: D3D70080 0E038502
	buffer_load_dwordx4 a[128:131], v34, s[24:27], 0 offen     // 0000000035B8: E05C1000 80868022
	v_mfma_i32_16x16x32_i8 v[128:131], a[4:5], v[196:197], v[128:131]// 0000000035C0: D3D70080 0E038904
	v_mfma_i32_16x16x32_i8 v[128:131], a[6:7], v[198:199], v[128:131]// 0000000035C8: D3D70080 0E038D06
	buffer_load_dword v26, s[20:23], 0 offen lds               // 0000000035D0: E0511000 8005001A
	s_add_u32 m0, 0x100, s50                                   // 0000000035D8: 807C32FF 00000100
	v_mfma_i32_16x16x32_i8 v[128:131], a[8:9], v[200:201], v[128:131]// 0000000035E0: D3D70080 0E039108
	v_mfma_i32_16x16x32_i8 v[128:131], a[10:11], v[202:203], v[128:131]// 0000000035E8: D3D70080 0E03950A
	buffer_load_dwordx4 a[132:135], v34, s[24:27], 0 offen offset:1024// 0000000035F0: E05C1400 80868422
	v_mfma_i32_16x16x32_i8 v[128:131], a[12:13], v[204:205], v[128:131]// 0000000035F8: D3D70080 0E03990C
	v_mfma_i32_16x16x32_i8 v[128:131], a[14:15], v[206:207], v[128:131]// 000000003600: D3D70080 0E039D0E
	buffer_load_dword v27, s[20:23], 0 offen lds               // 000000003608: E0511000 8005001B
	s_add_u32 m0, 0x200, s50                                   // 000000003610: 807C32FF 00000200
	v_mfma_i32_16x16x32_i8 v[132:135], a[0:1], v[208:209], v[132:135]// 000000003618: D3D70084 0E13A100
	v_mfma_i32_16x16x32_i8 v[132:135], a[2:3], v[210:211], v[132:135]// 000000003620: D3D70084 0E13A502
	buffer_load_dwordx4 a[136:139], v34, s[24:27], 0 offen offset:2048// 000000003628: E05C1800 80868822
	v_mfma_i32_16x16x32_i8 v[132:135], a[4:5], v[212:213], v[132:135]// 000000003630: D3D70084 0E13A904
	v_mfma_i32_16x16x32_i8 v[132:135], a[6:7], v[214:215], v[132:135]// 000000003638: D3D70084 0E13AD06
	buffer_load_dword v28, s[20:23], 0 offen lds               // 000000003640: E0511000 8005001C
	s_add_u32 m0, 0x300, s50                                   // 000000003648: 807C32FF 00000300
	v_mfma_i32_16x16x32_i8 v[132:135], a[8:9], v[216:217], v[132:135]// 000000003650: D3D70084 0E13B108
	v_mfma_i32_16x16x32_i8 v[132:135], a[10:11], v[218:219], v[132:135]// 000000003658: D3D70084 0E13B50A
	buffer_load_dwordx4 a[140:143], v34, s[24:27], 0 offen offset:3072// 000000003660: E05C1C00 80868C22
	v_mfma_i32_16x16x32_i8 v[132:135], a[12:13], v[220:221], v[132:135]// 000000003668: D3D70084 0E13B90C
	v_mfma_i32_16x16x32_i8 v[132:135], a[14:15], v[222:223], v[132:135]// 000000003670: D3D70084 0E13BD0E
	buffer_load_dword v29, s[20:23], 0 offen lds               // 000000003678: E0511000 8005001D
	s_add_u32 m0, 0x400, s50                                   // 000000003680: 807C32FF 00000400
	v_mfma_i32_16x16x32_i8 v[136:139], a[16:17], v[192:193], v[136:139]// 000000003688: D3D70088 0E238110
	v_mfma_i32_16x16x32_i8 v[136:139], a[18:19], v[194:195], v[136:139]// 000000003690: D3D70088 0E238512
	buffer_load_dwordx4 a[144:147], v35, s[24:27], 0 offen     // 000000003698: E05C1000 80869023
	v_mfma_i32_16x16x32_i8 v[136:139], a[20:21], v[196:197], v[136:139]// 0000000036A0: D3D70088 0E238914
	v_mfma_i32_16x16x32_i8 v[136:139], a[22:23], v[198:199], v[136:139]// 0000000036A8: D3D70088 0E238D16
	buffer_load_dword v30, s[20:23], 0 offen lds               // 0000000036B0: E0511000 8005001E
	s_add_u32 m0, 0x500, s50                                   // 0000000036B8: 807C32FF 00000500
	v_mfma_i32_16x16x32_i8 v[136:139], a[24:25], v[200:201], v[136:139]// 0000000036C0: D3D70088 0E239118
	v_mfma_i32_16x16x32_i8 v[136:139], a[26:27], v[202:203], v[136:139]// 0000000036C8: D3D70088 0E23951A
	buffer_load_dwordx4 a[148:151], v35, s[24:27], 0 offen offset:1024// 0000000036D0: E05C1400 80869423
	v_mfma_i32_16x16x32_i8 v[136:139], a[28:29], v[204:205], v[136:139]// 0000000036D8: D3D70088 0E23991C
	v_mfma_i32_16x16x32_i8 v[136:139], a[30:31], v[206:207], v[136:139]// 0000000036E0: D3D70088 0E239D1E
	buffer_load_dword v31, s[20:23], 0 offen lds               // 0000000036E8: E0511000 8005001F
	s_add_u32 m0, 0x600, s50                                   // 0000000036F0: 807C32FF 00000600
	v_mfma_i32_16x16x32_i8 v[140:143], a[16:17], v[208:209], v[140:143]// 0000000036F8: D3D7008C 0E33A110
	v_mfma_i32_16x16x32_i8 v[140:143], a[18:19], v[210:211], v[140:143]// 000000003700: D3D7008C 0E33A512
	buffer_load_dwordx4 a[152:155], v35, s[24:27], 0 offen offset:2048// 000000003708: E05C1800 80869823
	v_mfma_i32_16x16x32_i8 v[140:143], a[20:21], v[212:213], v[140:143]// 000000003710: D3D7008C 0E33A914
	v_mfma_i32_16x16x32_i8 v[140:143], a[22:23], v[214:215], v[140:143]// 000000003718: D3D7008C 0E33AD16
	buffer_load_dword v32, s[20:23], 0 offen lds               // 000000003720: E0511000 80050020
	s_add_u32 m0, 0x700, s50                                   // 000000003728: 807C32FF 00000700
	v_mfma_i32_16x16x32_i8 v[140:143], a[24:25], v[216:217], v[140:143]// 000000003730: D3D7008C 0E33B118
	v_mfma_i32_16x16x32_i8 v[140:143], a[26:27], v[218:219], v[140:143]// 000000003738: D3D7008C 0E33B51A
	buffer_load_dwordx4 a[156:159], v35, s[24:27], 0 offen offset:3072// 000000003740: E05C1C00 80869C23
	v_mfma_i32_16x16x32_i8 v[140:143], a[28:29], v[220:221], v[140:143]// 000000003748: D3D7008C 0E33B91C
	v_mfma_i32_16x16x32_i8 v[140:143], a[30:31], v[222:223], v[140:143]// 000000003750: D3D7008C 0E33BD1E
	buffer_load_dword v33, s[20:23], 0 offen lds               // 000000003758: E0511000 80050021
	s_add_u32 m0, 0, s51                                       // 000000003760: 807C3380
	s_waitcnt vmcnt(36)                                        // 000000003764: BF8C8F74
	v_mfma_i32_16x16x32_i8 v[144:147], a[32:33], v[192:193], v[144:147]// 000000003768: D3D70090 0E438120
	v_mfma_i32_16x16x32_i8 v[144:147], a[34:35], v[194:195], v[144:147]// 000000003770: D3D70090 0E438522
	buffer_load_dwordx4 a[160:163], v36, s[24:27], 0 offen     // 000000003778: E05C1000 8086A024
	v_mfma_i32_16x16x32_i8 v[144:147], a[36:37], v[196:197], v[144:147]// 000000003780: D3D70090 0E438924
	v_mfma_i32_16x16x32_i8 v[144:147], a[38:39], v[198:199], v[144:147]// 000000003788: D3D70090 0E438D26
	ds_read_b128 v[224:227], v2 offset:8320                    // 000000003790: D9FE2080 E0000002
	v_mfma_i32_16x16x32_i8 v[144:147], a[40:41], v[200:201], v[144:147]// 000000003798: D3D70090 0E439128
	v_mfma_i32_16x16x32_i8 v[144:147], a[42:43], v[202:203], v[144:147]// 0000000037A0: D3D70090 0E43952A
	buffer_load_dwordx4 a[164:167], v36, s[24:27], 0 offen offset:1024// 0000000037A8: E05C1400 8086A424
	v_mfma_i32_16x16x32_i8 v[144:147], a[44:45], v[204:205], v[144:147]// 0000000037B0: D3D70090 0E43992C
	v_mfma_i32_16x16x32_i8 v[144:147], a[46:47], v[206:207], v[144:147]// 0000000037B8: D3D70090 0E439D2E
	ds_read_b128 v[228:231], v2 offset:8384                    // 0000000037C0: D9FE20C0 E4000002
	v_mfma_i32_16x16x32_i8 v[148:151], a[32:33], v[208:209], v[148:151]// 0000000037C8: D3D70094 0E53A120
	v_mfma_i32_16x16x32_i8 v[148:151], a[34:35], v[210:211], v[148:151]// 0000000037D0: D3D70094 0E53A522
	buffer_load_dwordx4 a[168:171], v36, s[24:27], 0 offen offset:2048// 0000000037D8: E05C1800 8086A824
	v_mfma_i32_16x16x32_i8 v[148:151], a[36:37], v[212:213], v[148:151]// 0000000037E0: D3D70094 0E53A924
	v_mfma_i32_16x16x32_i8 v[148:151], a[38:39], v[214:215], v[148:151]// 0000000037E8: D3D70094 0E53AD26
	ds_read_b128 v[232:235], v2 offset:8448                    // 0000000037F0: D9FE2100 E8000002
	v_mfma_i32_16x16x32_i8 v[148:151], a[40:41], v[216:217], v[148:151]// 0000000037F8: D3D70094 0E53B128
	v_mfma_i32_16x16x32_i8 v[148:151], a[42:43], v[218:219], v[148:151]// 000000003800: D3D70094 0E53B52A
	buffer_load_dwordx4 a[172:175], v36, s[24:27], 0 offen offset:3072// 000000003808: E05C1C00 8086AC24
	v_mfma_i32_16x16x32_i8 v[148:151], a[44:45], v[220:221], v[148:151]// 000000003810: D3D70094 0E53B92C
	v_mfma_i32_16x16x32_i8 v[148:151], a[46:47], v[222:223], v[148:151]// 000000003818: D3D70094 0E53BD2E
	ds_read_b128 v[236:239], v2 offset:8512                    // 000000003820: D9FE2140 EC000002
	s_waitcnt vmcnt(36)                                        // 000000003828: BF8C8F74
	v_mfma_i32_16x16x32_i8 v[152:155], a[48:49], v[192:193], v[152:155]// 00000000382C: D3D70098 0E638130
	v_mfma_i32_16x16x32_i8 v[152:155], a[50:51], v[194:195], v[152:155]// 000000003834: D3D70098 0E638532
	buffer_load_dwordx4 a[176:179], v37, s[24:27], 0 offen     // 00000000383C: E05C1000 8086B025
	v_mfma_i32_16x16x32_i8 v[152:155], a[52:53], v[196:197], v[152:155]// 000000003844: D3D70098 0E638934
	v_mfma_i32_16x16x32_i8 v[152:155], a[54:55], v[198:199], v[152:155]// 00000000384C: D3D70098 0E638D36
	ds_read_b128 v[240:243], v2 offset:9344                    // 000000003854: D9FE2480 F0000002
	v_mfma_i32_16x16x32_i8 v[152:155], a[56:57], v[200:201], v[152:155]// 00000000385C: D3D70098 0E639138
	v_mfma_i32_16x16x32_i8 v[152:155], a[58:59], v[202:203], v[152:155]// 000000003864: D3D70098 0E63953A
	buffer_load_dwordx4 a[180:183], v37, s[24:27], 0 offen offset:1024// 00000000386C: E05C1400 8086B425
	v_mfma_i32_16x16x32_i8 v[152:155], a[60:61], v[204:205], v[152:155]// 000000003874: D3D70098 0E63993C
	v_mfma_i32_16x16x32_i8 v[152:155], a[62:63], v[206:207], v[152:155]// 00000000387C: D3D70098 0E639D3E
	ds_read_b128 v[244:247], v2 offset:9408                    // 000000003884: D9FE24C0 F4000002
	v_mfma_i32_16x16x32_i8 v[156:159], a[48:49], v[208:209], v[156:159]// 00000000388C: D3D7009C 0E73A130
	v_mfma_i32_16x16x32_i8 v[156:159], a[50:51], v[210:211], v[156:159]// 000000003894: D3D7009C 0E73A532
	buffer_load_dwordx4 a[184:187], v37, s[24:27], 0 offen offset:2048// 00000000389C: E05C1800 8086B825
	v_mfma_i32_16x16x32_i8 v[156:159], a[52:53], v[212:213], v[156:159]// 0000000038A4: D3D7009C 0E73A934
	v_mfma_i32_16x16x32_i8 v[156:159], a[54:55], v[214:215], v[156:159]// 0000000038AC: D3D7009C 0E73AD36
	ds_read_b128 v[248:251], v2 offset:9472                    // 0000000038B4: D9FE2500 F8000002
	v_mfma_i32_16x16x32_i8 v[156:159], a[56:57], v[216:217], v[156:159]// 0000000038BC: D3D7009C 0E73B138
	v_mfma_i32_16x16x32_i8 v[156:159], a[58:59], v[218:219], v[156:159]// 0000000038C4: D3D7009C 0E73B53A
	buffer_load_dwordx4 a[188:191], v37, s[24:27], 0 offen offset:3072// 0000000038CC: E05C1C00 8086BC25
	v_mfma_i32_16x16x32_i8 v[156:159], a[60:61], v[220:221], v[156:159]// 0000000038D4: D3D7009C 0E73B93C
	v_mfma_i32_16x16x32_i8 v[156:159], a[62:63], v[222:223], v[156:159]// 0000000038DC: D3D7009C 0E73BD3E
	ds_read_b128 v[252:255], v2 offset:9536                    // 0000000038E4: D9FE2540 FC000002
	s_waitcnt vmcnt(36)                                        // 0000000038EC: BF8C8F74
	v_mfma_i32_16x16x32_i8 v[160:163], a[64:65], v[192:193], v[160:163]// 0000000038F0: D3D700A0 0E838140
	v_mfma_i32_16x16x32_i8 v[160:163], a[66:67], v[194:195], v[160:163]// 0000000038F8: D3D700A0 0E838542
	buffer_load_dwordx4 a[192:195], v38, s[24:27], 0 offen     // 000000003900: E05C1000 8086C026
	v_mfma_i32_16x16x32_i8 v[160:163], a[68:69], v[196:197], v[160:163]// 000000003908: D3D700A0 0E838944
	v_mfma_i32_16x16x32_i8 v[160:163], a[70:71], v[198:199], v[160:163]// 000000003910: D3D700A0 0E838D46
	v_mfma_i32_16x16x32_i8 v[160:163], a[72:73], v[200:201], v[160:163]// 000000003918: D3D700A0 0E839148
	v_mfma_i32_16x16x32_i8 v[160:163], a[74:75], v[202:203], v[160:163]// 000000003920: D3D700A0 0E83954A
	buffer_load_dwordx4 a[196:199], v38, s[24:27], 0 offen offset:1024// 000000003928: E05C1400 8086C426
	v_mfma_i32_16x16x32_i8 v[160:163], a[76:77], v[204:205], v[160:163]// 000000003930: D3D700A0 0E83994C
	v_mfma_i32_16x16x32_i8 v[160:163], a[78:79], v[206:207], v[160:163]// 000000003938: D3D700A0 0E839D4E
	v_mfma_i32_16x16x32_i8 v[164:167], a[64:65], v[208:209], v[164:167]// 000000003940: D3D700A4 0E93A140
	v_mfma_i32_16x16x32_i8 v[164:167], a[66:67], v[210:211], v[164:167]// 000000003948: D3D700A4 0E93A542
	buffer_load_dwordx4 a[200:203], v38, s[24:27], 0 offen offset:2048// 000000003950: E05C1800 8086C826
	v_mfma_i32_16x16x32_i8 v[164:167], a[68:69], v[212:213], v[164:167]// 000000003958: D3D700A4 0E93A944
	v_mfma_i32_16x16x32_i8 v[164:167], a[70:71], v[214:215], v[164:167]// 000000003960: D3D700A4 0E93AD46
	v_mfma_i32_16x16x32_i8 v[164:167], a[72:73], v[216:217], v[164:167]// 000000003968: D3D700A4 0E93B148
	v_mfma_i32_16x16x32_i8 v[164:167], a[74:75], v[218:219], v[164:167]// 000000003970: D3D700A4 0E93B54A
	buffer_load_dwordx4 a[204:207], v38, s[24:27], 0 offen offset:3072// 000000003978: E05C1C00 8086CC26
	v_mfma_i32_16x16x32_i8 v[164:167], a[76:77], v[220:221], v[164:167]// 000000003980: D3D700A4 0E93B94C
	v_mfma_i32_16x16x32_i8 v[164:167], a[78:79], v[222:223], v[164:167]// 000000003988: D3D700A4 0E93BD4E
	s_waitcnt vmcnt(36)                                        // 000000003990: BF8C8F74
	v_mfma_i32_16x16x32_i8 v[168:171], a[80:81], v[192:193], v[168:171]// 000000003994: D3D700A8 0EA38150
	v_mfma_i32_16x16x32_i8 v[168:171], a[82:83], v[194:195], v[168:171]// 00000000399C: D3D700A8 0EA38552
	buffer_load_dwordx4 a[208:211], v39, s[24:27], 0 offen     // 0000000039A4: E05C1000 8086D027
	v_mfma_i32_16x16x32_i8 v[168:171], a[84:85], v[196:197], v[168:171]// 0000000039AC: D3D700A8 0EA38954
	v_mfma_i32_16x16x32_i8 v[168:171], a[86:87], v[198:199], v[168:171]// 0000000039B4: D3D700A8 0EA38D56
	v_mfma_i32_16x16x32_i8 v[168:171], a[88:89], v[200:201], v[168:171]// 0000000039BC: D3D700A8 0EA39158
	v_mfma_i32_16x16x32_i8 v[168:171], a[90:91], v[202:203], v[168:171]// 0000000039C4: D3D700A8 0EA3955A
	buffer_load_dwordx4 a[212:215], v39, s[24:27], 0 offen offset:1024// 0000000039CC: E05C1400 8086D427
	v_mfma_i32_16x16x32_i8 v[168:171], a[92:93], v[204:205], v[168:171]// 0000000039D4: D3D700A8 0EA3995C
	v_mfma_i32_16x16x32_i8 v[168:171], a[94:95], v[206:207], v[168:171]// 0000000039DC: D3D700A8 0EA39D5E
	v_mfma_i32_16x16x32_i8 v[172:175], a[80:81], v[208:209], v[172:175]// 0000000039E4: D3D700AC 0EB3A150
	v_mfma_i32_16x16x32_i8 v[172:175], a[82:83], v[210:211], v[172:175]// 0000000039EC: D3D700AC 0EB3A552
	buffer_load_dwordx4 a[216:219], v39, s[24:27], 0 offen offset:2048// 0000000039F4: E05C1800 8086D827
	v_mfma_i32_16x16x32_i8 v[172:175], a[84:85], v[212:213], v[172:175]// 0000000039FC: D3D700AC 0EB3A954
	v_mfma_i32_16x16x32_i8 v[172:175], a[86:87], v[214:215], v[172:175]// 000000003A04: D3D700AC 0EB3AD56
	v_mfma_i32_16x16x32_i8 v[172:175], a[88:89], v[216:217], v[172:175]// 000000003A0C: D3D700AC 0EB3B158
	v_mfma_i32_16x16x32_i8 v[172:175], a[90:91], v[218:219], v[172:175]// 000000003A14: D3D700AC 0EB3B55A
	buffer_load_dwordx4 a[220:223], v39, s[24:27], 0 offen offset:3072// 000000003A1C: E05C1C00 8086DC27
	v_mfma_i32_16x16x32_i8 v[172:175], a[92:93], v[220:221], v[172:175]// 000000003A24: D3D700AC 0EB3B95C
	v_mfma_i32_16x16x32_i8 v[172:175], a[94:95], v[222:223], v[172:175]// 000000003A2C: D3D700AC 0EB3BD5E
	s_waitcnt vmcnt(36)                                        // 000000003A34: BF8C8F74
	v_mfma_i32_16x16x32_i8 v[176:179], a[96:97], v[192:193], v[176:179]// 000000003A38: D3D700B0 0EC38160
	v_mfma_i32_16x16x32_i8 v[176:179], a[98:99], v[194:195], v[176:179]// 000000003A40: D3D700B0 0EC38562
	buffer_load_dwordx4 a[224:227], v40, s[24:27], 0 offen     // 000000003A48: E05C1000 8086E028
	v_mfma_i32_16x16x32_i8 v[176:179], a[100:101], v[196:197], v[176:179]// 000000003A50: D3D700B0 0EC38964
	v_mfma_i32_16x16x32_i8 v[176:179], a[102:103], v[198:199], v[176:179]// 000000003A58: D3D700B0 0EC38D66
	v_mfma_i32_16x16x32_i8 v[176:179], a[104:105], v[200:201], v[176:179]// 000000003A60: D3D700B0 0EC39168
	v_mfma_i32_16x16x32_i8 v[176:179], a[106:107], v[202:203], v[176:179]// 000000003A68: D3D700B0 0EC3956A
	buffer_load_dwordx4 a[228:231], v40, s[24:27], 0 offen offset:1024// 000000003A70: E05C1400 8086E428
	v_mfma_i32_16x16x32_i8 v[176:179], a[108:109], v[204:205], v[176:179]// 000000003A78: D3D700B0 0EC3996C
	v_mfma_i32_16x16x32_i8 v[176:179], a[110:111], v[206:207], v[176:179]// 000000003A80: D3D700B0 0EC39D6E
	v_mfma_i32_16x16x32_i8 v[180:183], a[96:97], v[208:209], v[180:183]// 000000003A88: D3D700B4 0ED3A160
	v_mfma_i32_16x16x32_i8 v[180:183], a[98:99], v[210:211], v[180:183]// 000000003A90: D3D700B4 0ED3A562
	buffer_load_dwordx4 a[232:235], v40, s[24:27], 0 offen offset:2048// 000000003A98: E05C1800 8086E828
	v_mfma_i32_16x16x32_i8 v[180:183], a[100:101], v[212:213], v[180:183]// 000000003AA0: D3D700B4 0ED3A964
	v_mfma_i32_16x16x32_i8 v[180:183], a[102:103], v[214:215], v[180:183]// 000000003AA8: D3D700B4 0ED3AD66
	v_mfma_i32_16x16x32_i8 v[180:183], a[104:105], v[216:217], v[180:183]// 000000003AB0: D3D700B4 0ED3B168
	v_mfma_i32_16x16x32_i8 v[180:183], a[106:107], v[218:219], v[180:183]// 000000003AB8: D3D700B4 0ED3B56A
	buffer_load_dwordx4 a[236:239], v40, s[24:27], 0 offen offset:3072// 000000003AC0: E05C1C00 8086EC28
	v_mfma_i32_16x16x32_i8 v[180:183], a[108:109], v[220:221], v[180:183]// 000000003AC8: D3D700B4 0ED3B96C
	v_mfma_i32_16x16x32_i8 v[180:183], a[110:111], v[222:223], v[180:183]// 000000003AD0: D3D700B4 0ED3BD6E
	s_waitcnt vmcnt(36)                                        // 000000003AD8: BF8C8F74
	v_mfma_i32_16x16x32_i8 v[184:187], a[112:113], v[192:193], v[184:187]// 000000003ADC: D3D700B8 0EE38170
	v_mfma_i32_16x16x32_i8 v[184:187], a[114:115], v[194:195], v[184:187]// 000000003AE4: D3D700B8 0EE38572
	buffer_load_dwordx4 a[240:243], v41, s[24:27], 0 offen     // 000000003AEC: E05C1000 8086F029
	v_mfma_i32_16x16x32_i8 v[184:187], a[116:117], v[196:197], v[184:187]// 000000003AF4: D3D700B8 0EE38974
	v_mfma_i32_16x16x32_i8 v[184:187], a[118:119], v[198:199], v[184:187]// 000000003AFC: D3D700B8 0EE38D76
	v_mfma_i32_16x16x32_i8 v[184:187], a[120:121], v[200:201], v[184:187]// 000000003B04: D3D700B8 0EE39178
	v_mfma_i32_16x16x32_i8 v[184:187], a[122:123], v[202:203], v[184:187]// 000000003B0C: D3D700B8 0EE3957A
	buffer_load_dwordx4 a[244:247], v41, s[24:27], 0 offen offset:1024// 000000003B14: E05C1400 8086F429
	v_mfma_i32_16x16x32_i8 v[184:187], a[124:125], v[204:205], v[184:187]// 000000003B1C: D3D700B8 0EE3997C
	v_mfma_i32_16x16x32_i8 v[184:187], a[126:127], v[206:207], v[184:187]// 000000003B24: D3D700B8 0EE39D7E
	v_mfma_i32_16x16x32_i8 v[188:191], a[112:113], v[208:209], v[188:191]// 000000003B2C: D3D700BC 0EF3A170
	v_mfma_i32_16x16x32_i8 v[188:191], a[114:115], v[210:211], v[188:191]// 000000003B34: D3D700BC 0EF3A572
	buffer_load_dwordx4 a[248:251], v41, s[24:27], 0 offen offset:2048// 000000003B3C: E05C1800 8086F829
	v_mfma_i32_16x16x32_i8 v[188:191], a[116:117], v[212:213], v[188:191]// 000000003B44: D3D700BC 0EF3A974
	v_mfma_i32_16x16x32_i8 v[188:191], a[118:119], v[214:215], v[188:191]// 000000003B4C: D3D700BC 0EF3AD76
	v_mfma_i32_16x16x32_i8 v[188:191], a[120:121], v[216:217], v[188:191]// 000000003B54: D3D700BC 0EF3B178
	v_mfma_i32_16x16x32_i8 v[188:191], a[122:123], v[218:219], v[188:191]// 000000003B5C: D3D700BC 0EF3B57A
	buffer_load_dwordx4 a[252:255], v41, s[24:27], 0 offen offset:3072// 000000003B64: E05C1C00 8086FC29
	v_mfma_i32_16x16x32_i8 v[188:191], a[124:125], v[220:221], v[188:191]// 000000003B6C: D3D700BC 0EF3B97C
	v_mfma_i32_16x16x32_i8 v[188:191], a[126:127], v[222:223], v[188:191]// 000000003B74: D3D700BC 0EF3BD7E
	s_add_u32 s60, 0x300, s80                                  // 000000003B7C: 803C50FF 00000300
	s_cmp_lt_u32 s60, s81                                      // 000000003B84: BF0A513C
	s_cselect_b32 s57, s57, 0                                  // 000000003B88: 85398039
	s_add_u32 s60, 0x200, s80                                  // 000000003B8C: 803C50FF 00000200
	s_cmp_lt_u32 s60, s81                                      // 000000003B94: BF0A513C
	s_cselect_b32 s58, s58, 0                                  // 000000003B98: 853A803A
	s_add_u32 s20, s57, s20                                    // 000000003B9C: 80141439
	s_addc_u32 s21, 0, s21                                     // 000000003BA0: 82151580
	s_add_u32 s24, s58, s24                                    // 000000003BA4: 8018183A
	s_addc_u32 s25, 0, s25                                     // 000000003BA8: 82191980
	s_addk_i32 s80, 0x100                                      // 000000003BAC: B7500100
	s_cmp_lt_i32 s80, s81                                      // 000000003BB0: BF045150
	s_cbranch_scc0 label_05B5                                  // 000000003BB4: BF840187
	s_waitcnt vmcnt(24) lgkmcnt(0)                             // 000000003BB8: BF8C4078
	s_barrier                                                  // 000000003BBC: BF8A0000
	v_mfma_i32_16x16x32_i8 v[128:131], a[128:129], v[224:225], v[128:131]// 000000003BC0: D3D70080 0E03C180
	v_mfma_i32_16x16x32_i8 v[128:131], a[130:131], v[226:227], v[128:131]// 000000003BC8: D3D70080 0E03C582
	buffer_load_dwordx4 a[0:3], v34, s[24:27], 0 offen         // 000000003BD0: E05C1000 80860022
	v_mfma_i32_16x16x32_i8 v[128:131], a[132:133], v[228:229], v[128:131]// 000000003BD8: D3D70080 0E03C984
	v_mfma_i32_16x16x32_i8 v[128:131], a[134:135], v[230:231], v[128:131]// 000000003BE0: D3D70080 0E03CD86
	buffer_load_dword v26, s[20:23], 0 offen lds               // 000000003BE8: E0511000 8005001A
	s_add_u32 m0, 0x100, s51                                   // 000000003BF0: 807C33FF 00000100
	v_mfma_i32_16x16x32_i8 v[128:131], a[136:137], v[232:233], v[128:131]// 000000003BF8: D3D70080 0E03D188
	v_mfma_i32_16x16x32_i8 v[128:131], a[138:139], v[234:235], v[128:131]// 000000003C00: D3D70080 0E03D58A
	buffer_load_dwordx4 a[4:7], v34, s[24:27], 0 offen offset:1024// 000000003C08: E05C1400 80860422
	v_mfma_i32_16x16x32_i8 v[128:131], a[140:141], v[236:237], v[128:131]// 000000003C10: D3D70080 0E03D98C
	v_mfma_i32_16x16x32_i8 v[128:131], a[142:143], v[238:239], v[128:131]// 000000003C18: D3D70080 0E03DD8E
	buffer_load_dword v27, s[20:23], 0 offen lds               // 000000003C20: E0511000 8005001B
	s_add_u32 m0, 0x200, s51                                   // 000000003C28: 807C33FF 00000200
	v_mfma_i32_16x16x32_i8 v[132:135], a[128:129], v[240:241], v[132:135]// 000000003C30: D3D70084 0E13E180
	v_mfma_i32_16x16x32_i8 v[132:135], a[130:131], v[242:243], v[132:135]// 000000003C38: D3D70084 0E13E582
	buffer_load_dwordx4 a[8:11], v34, s[24:27], 0 offen offset:2048// 000000003C40: E05C1800 80860822
	v_mfma_i32_16x16x32_i8 v[132:135], a[132:133], v[244:245], v[132:135]// 000000003C48: D3D70084 0E13E984
	v_mfma_i32_16x16x32_i8 v[132:135], a[134:135], v[246:247], v[132:135]// 000000003C50: D3D70084 0E13ED86
	buffer_load_dword v28, s[20:23], 0 offen lds               // 000000003C58: E0511000 8005001C
	s_add_u32 m0, 0x300, s51                                   // 000000003C60: 807C33FF 00000300
	v_mfma_i32_16x16x32_i8 v[132:135], a[136:137], v[248:249], v[132:135]// 000000003C68: D3D70084 0E13F188
	v_mfma_i32_16x16x32_i8 v[132:135], a[138:139], v[250:251], v[132:135]// 000000003C70: D3D70084 0E13F58A
	buffer_load_dwordx4 a[12:15], v34, s[24:27], 0 offen offset:3072// 000000003C78: E05C1C00 80860C22
	v_mfma_i32_16x16x32_i8 v[132:135], a[140:141], v[252:253], v[132:135]// 000000003C80: D3D70084 0E13F98C
	v_mfma_i32_16x16x32_i8 v[132:135], a[142:143], v[254:255], v[132:135]// 000000003C88: D3D70084 0E13FD8E
	buffer_load_dword v29, s[20:23], 0 offen lds               // 000000003C90: E0511000 8005001D
	s_add_u32 m0, 0x400, s51                                   // 000000003C98: 807C33FF 00000400
	v_mfma_i32_16x16x32_i8 v[136:139], a[144:145], v[224:225], v[136:139]// 000000003CA0: D3D70088 0E23C190
	v_mfma_i32_16x16x32_i8 v[136:139], a[146:147], v[226:227], v[136:139]// 000000003CA8: D3D70088 0E23C592
	buffer_load_dwordx4 a[16:19], v35, s[24:27], 0 offen       // 000000003CB0: E05C1000 80861023
	v_mfma_i32_16x16x32_i8 v[136:139], a[148:149], v[228:229], v[136:139]// 000000003CB8: D3D70088 0E23C994
	v_mfma_i32_16x16x32_i8 v[136:139], a[150:151], v[230:231], v[136:139]// 000000003CC0: D3D70088 0E23CD96
	buffer_load_dword v30, s[20:23], 0 offen lds               // 000000003CC8: E0511000 8005001E
	s_add_u32 m0, 0x500, s51                                   // 000000003CD0: 807C33FF 00000500
	v_mfma_i32_16x16x32_i8 v[136:139], a[152:153], v[232:233], v[136:139]// 000000003CD8: D3D70088 0E23D198
	v_mfma_i32_16x16x32_i8 v[136:139], a[154:155], v[234:235], v[136:139]// 000000003CE0: D3D70088 0E23D59A
	buffer_load_dwordx4 a[20:23], v35, s[24:27], 0 offen offset:1024// 000000003CE8: E05C1400 80861423
	v_mfma_i32_16x16x32_i8 v[136:139], a[156:157], v[236:237], v[136:139]// 000000003CF0: D3D70088 0E23D99C
	v_mfma_i32_16x16x32_i8 v[136:139], a[158:159], v[238:239], v[136:139]// 000000003CF8: D3D70088 0E23DD9E
	buffer_load_dword v31, s[20:23], 0 offen lds               // 000000003D00: E0511000 8005001F
	s_add_u32 m0, 0x600, s51                                   // 000000003D08: 807C33FF 00000600
	v_mfma_i32_16x16x32_i8 v[140:143], a[144:145], v[240:241], v[140:143]// 000000003D10: D3D7008C 0E33E190
	v_mfma_i32_16x16x32_i8 v[140:143], a[146:147], v[242:243], v[140:143]// 000000003D18: D3D7008C 0E33E592
	buffer_load_dwordx4 a[24:27], v35, s[24:27], 0 offen offset:2048// 000000003D20: E05C1800 80861823
	v_mfma_i32_16x16x32_i8 v[140:143], a[148:149], v[244:245], v[140:143]// 000000003D28: D3D7008C 0E33E994
	v_mfma_i32_16x16x32_i8 v[140:143], a[150:151], v[246:247], v[140:143]// 000000003D30: D3D7008C 0E33ED96
	buffer_load_dword v32, s[20:23], 0 offen lds               // 000000003D38: E0511000 80050020
	s_add_u32 m0, 0x700, s51                                   // 000000003D40: 807C33FF 00000700
	v_mfma_i32_16x16x32_i8 v[140:143], a[152:153], v[248:249], v[140:143]// 000000003D48: D3D7008C 0E33F198
	v_mfma_i32_16x16x32_i8 v[140:143], a[154:155], v[250:251], v[140:143]// 000000003D50: D3D7008C 0E33F59A
	buffer_load_dwordx4 a[28:31], v35, s[24:27], 0 offen offset:3072// 000000003D58: E05C1C00 80861C23
	v_mfma_i32_16x16x32_i8 v[140:143], a[156:157], v[252:253], v[140:143]// 000000003D60: D3D7008C 0E33F99C
	v_mfma_i32_16x16x32_i8 v[140:143], a[158:159], v[254:255], v[140:143]// 000000003D68: D3D7008C 0E33FD9E
	buffer_load_dword v33, s[20:23], 0 offen lds               // 000000003D70: E0511000 80050021
	s_add_u32 m0, 0, s50                                       // 000000003D78: 807C3280
	s_waitcnt vmcnt(36)                                        // 000000003D7C: BF8C8F74
	v_mfma_i32_16x16x32_i8 v[144:147], a[160:161], v[224:225], v[144:147]// 000000003D80: D3D70090 0E43C1A0
	v_mfma_i32_16x16x32_i8 v[144:147], a[162:163], v[226:227], v[144:147]// 000000003D88: D3D70090 0E43C5A2
	buffer_load_dwordx4 a[32:35], v36, s[24:27], 0 offen       // 000000003D90: E05C1000 80862024
	v_mfma_i32_16x16x32_i8 v[144:147], a[164:165], v[228:229], v[144:147]// 000000003D98: D3D70090 0E43C9A4
	v_mfma_i32_16x16x32_i8 v[144:147], a[166:167], v[230:231], v[144:147]// 000000003DA0: D3D70090 0E43CDA6
	ds_read_b128 v[192:195], v2                                // 000000003DA8: D9FE0000 C0000002
	v_mfma_i32_16x16x32_i8 v[144:147], a[168:169], v[232:233], v[144:147]// 000000003DB0: D3D70090 0E43D1A8
	v_mfma_i32_16x16x32_i8 v[144:147], a[170:171], v[234:235], v[144:147]// 000000003DB8: D3D70090 0E43D5AA
	buffer_load_dwordx4 a[36:39], v36, s[24:27], 0 offen offset:1024// 000000003DC0: E05C1400 80862424
	v_mfma_i32_16x16x32_i8 v[144:147], a[172:173], v[236:237], v[144:147]// 000000003DC8: D3D70090 0E43D9AC
	v_mfma_i32_16x16x32_i8 v[144:147], a[174:175], v[238:239], v[144:147]// 000000003DD0: D3D70090 0E43DDAE
	ds_read_b128 v[196:199], v2 offset:64                      // 000000003DD8: D9FE0040 C4000002
	v_mfma_i32_16x16x32_i8 v[148:151], a[160:161], v[240:241], v[148:151]// 000000003DE0: D3D70094 0E53E1A0
	v_mfma_i32_16x16x32_i8 v[148:151], a[162:163], v[242:243], v[148:151]// 000000003DE8: D3D70094 0E53E5A2
	buffer_load_dwordx4 a[40:43], v36, s[24:27], 0 offen offset:2048// 000000003DF0: E05C1800 80862824
	v_mfma_i32_16x16x32_i8 v[148:151], a[164:165], v[244:245], v[148:151]// 000000003DF8: D3D70094 0E53E9A4
	v_mfma_i32_16x16x32_i8 v[148:151], a[166:167], v[246:247], v[148:151]// 000000003E00: D3D70094 0E53EDA6
	ds_read_b128 v[200:203], v2 offset:128                     // 000000003E08: D9FE0080 C8000002
	v_mfma_i32_16x16x32_i8 v[148:151], a[168:169], v[248:249], v[148:151]// 000000003E10: D3D70094 0E53F1A8
	v_mfma_i32_16x16x32_i8 v[148:151], a[170:171], v[250:251], v[148:151]// 000000003E18: D3D70094 0E53F5AA
	buffer_load_dwordx4 a[44:47], v36, s[24:27], 0 offen offset:3072// 000000003E20: E05C1C00 80862C24
	v_mfma_i32_16x16x32_i8 v[148:151], a[172:173], v[252:253], v[148:151]// 000000003E28: D3D70094 0E53F9AC
	v_mfma_i32_16x16x32_i8 v[148:151], a[174:175], v[254:255], v[148:151]// 000000003E30: D3D70094 0E53FDAE
	ds_read_b128 v[204:207], v2 offset:192                     // 000000003E38: D9FE00C0 CC000002
	s_waitcnt vmcnt(36)                                        // 000000003E40: BF8C8F74
	v_mfma_i32_16x16x32_i8 v[152:155], a[176:177], v[224:225], v[152:155]// 000000003E44: D3D70098 0E63C1B0
	v_mfma_i32_16x16x32_i8 v[152:155], a[178:179], v[226:227], v[152:155]// 000000003E4C: D3D70098 0E63C5B2
	buffer_load_dwordx4 a[48:51], v37, s[24:27], 0 offen       // 000000003E54: E05C1000 80863025
	v_mfma_i32_16x16x32_i8 v[152:155], a[180:181], v[228:229], v[152:155]// 000000003E5C: D3D70098 0E63C9B4
	v_mfma_i32_16x16x32_i8 v[152:155], a[182:183], v[230:231], v[152:155]// 000000003E64: D3D70098 0E63CDB6
	ds_read_b128 v[208:211], v2 offset:1024                    // 000000003E6C: D9FE0400 D0000002
	v_mfma_i32_16x16x32_i8 v[152:155], a[184:185], v[232:233], v[152:155]// 000000003E74: D3D70098 0E63D1B8
	v_mfma_i32_16x16x32_i8 v[152:155], a[186:187], v[234:235], v[152:155]// 000000003E7C: D3D70098 0E63D5BA
	buffer_load_dwordx4 a[52:55], v37, s[24:27], 0 offen offset:1024// 000000003E84: E05C1400 80863425
	v_mfma_i32_16x16x32_i8 v[152:155], a[188:189], v[236:237], v[152:155]// 000000003E8C: D3D70098 0E63D9BC
	v_mfma_i32_16x16x32_i8 v[152:155], a[190:191], v[238:239], v[152:155]// 000000003E94: D3D70098 0E63DDBE
	ds_read_b128 v[212:215], v2 offset:1088                    // 000000003E9C: D9FE0440 D4000002
	v_mfma_i32_16x16x32_i8 v[156:159], a[176:177], v[240:241], v[156:159]// 000000003EA4: D3D7009C 0E73E1B0
	v_mfma_i32_16x16x32_i8 v[156:159], a[178:179], v[242:243], v[156:159]// 000000003EAC: D3D7009C 0E73E5B2
	buffer_load_dwordx4 a[56:59], v37, s[24:27], 0 offen offset:2048// 000000003EB4: E05C1800 80863825
	v_mfma_i32_16x16x32_i8 v[156:159], a[180:181], v[244:245], v[156:159]// 000000003EBC: D3D7009C 0E73E9B4
	v_mfma_i32_16x16x32_i8 v[156:159], a[182:183], v[246:247], v[156:159]// 000000003EC4: D3D7009C 0E73EDB6
	ds_read_b128 v[216:219], v2 offset:1152                    // 000000003ECC: D9FE0480 D8000002
	v_mfma_i32_16x16x32_i8 v[156:159], a[184:185], v[248:249], v[156:159]// 000000003ED4: D3D7009C 0E73F1B8
	v_mfma_i32_16x16x32_i8 v[156:159], a[186:187], v[250:251], v[156:159]// 000000003EDC: D3D7009C 0E73F5BA
	buffer_load_dwordx4 a[60:63], v37, s[24:27], 0 offen offset:3072// 000000003EE4: E05C1C00 80863C25
	v_mfma_i32_16x16x32_i8 v[156:159], a[188:189], v[252:253], v[156:159]// 000000003EEC: D3D7009C 0E73F9BC
	v_mfma_i32_16x16x32_i8 v[156:159], a[190:191], v[254:255], v[156:159]// 000000003EF4: D3D7009C 0E73FDBE
	ds_read_b128 v[220:223], v2 offset:1216                    // 000000003EFC: D9FE04C0 DC000002
	s_waitcnt vmcnt(36)                                        // 000000003F04: BF8C8F74
	v_mfma_i32_16x16x32_i8 v[160:163], a[192:193], v[224:225], v[160:163]// 000000003F08: D3D700A0 0E83C1C0
	v_mfma_i32_16x16x32_i8 v[160:163], a[194:195], v[226:227], v[160:163]// 000000003F10: D3D700A0 0E83C5C2
	buffer_load_dwordx4 a[64:67], v38, s[24:27], 0 offen       // 000000003F18: E05C1000 80864026
	v_mfma_i32_16x16x32_i8 v[160:163], a[196:197], v[228:229], v[160:163]// 000000003F20: D3D700A0 0E83C9C4
	v_mfma_i32_16x16x32_i8 v[160:163], a[198:199], v[230:231], v[160:163]// 000000003F28: D3D700A0 0E83CDC6
	v_mfma_i32_16x16x32_i8 v[160:163], a[200:201], v[232:233], v[160:163]// 000000003F30: D3D700A0 0E83D1C8
	v_mfma_i32_16x16x32_i8 v[160:163], a[202:203], v[234:235], v[160:163]// 000000003F38: D3D700A0 0E83D5CA
	buffer_load_dwordx4 a[68:71], v38, s[24:27], 0 offen offset:1024// 000000003F40: E05C1400 80864426
	v_mfma_i32_16x16x32_i8 v[160:163], a[204:205], v[236:237], v[160:163]// 000000003F48: D3D700A0 0E83D9CC
	v_mfma_i32_16x16x32_i8 v[160:163], a[206:207], v[238:239], v[160:163]// 000000003F50: D3D700A0 0E83DDCE
	v_mfma_i32_16x16x32_i8 v[164:167], a[192:193], v[240:241], v[164:167]// 000000003F58: D3D700A4 0E93E1C0
	v_mfma_i32_16x16x32_i8 v[164:167], a[194:195], v[242:243], v[164:167]// 000000003F60: D3D700A4 0E93E5C2
	buffer_load_dwordx4 a[72:75], v38, s[24:27], 0 offen offset:2048// 000000003F68: E05C1800 80864826
	v_mfma_i32_16x16x32_i8 v[164:167], a[196:197], v[244:245], v[164:167]// 000000003F70: D3D700A4 0E93E9C4
	v_mfma_i32_16x16x32_i8 v[164:167], a[198:199], v[246:247], v[164:167]// 000000003F78: D3D700A4 0E93EDC6
	v_mfma_i32_16x16x32_i8 v[164:167], a[200:201], v[248:249], v[164:167]// 000000003F80: D3D700A4 0E93F1C8
	v_mfma_i32_16x16x32_i8 v[164:167], a[202:203], v[250:251], v[164:167]// 000000003F88: D3D700A4 0E93F5CA
	buffer_load_dwordx4 a[76:79], v38, s[24:27], 0 offen offset:3072// 000000003F90: E05C1C00 80864C26
	v_mfma_i32_16x16x32_i8 v[164:167], a[204:205], v[252:253], v[164:167]// 000000003F98: D3D700A4 0E93F9CC
	v_mfma_i32_16x16x32_i8 v[164:167], a[206:207], v[254:255], v[164:167]// 000000003FA0: D3D700A4 0E93FDCE
	s_waitcnt vmcnt(36)                                        // 000000003FA8: BF8C8F74
	v_mfma_i32_16x16x32_i8 v[168:171], a[208:209], v[224:225], v[168:171]// 000000003FAC: D3D700A8 0EA3C1D0
	v_mfma_i32_16x16x32_i8 v[168:171], a[210:211], v[226:227], v[168:171]// 000000003FB4: D3D700A8 0EA3C5D2
	buffer_load_dwordx4 a[80:83], v39, s[24:27], 0 offen       // 000000003FBC: E05C1000 80865027
	v_mfma_i32_16x16x32_i8 v[168:171], a[212:213], v[228:229], v[168:171]// 000000003FC4: D3D700A8 0EA3C9D4
	v_mfma_i32_16x16x32_i8 v[168:171], a[214:215], v[230:231], v[168:171]// 000000003FCC: D3D700A8 0EA3CDD6
	v_mfma_i32_16x16x32_i8 v[168:171], a[216:217], v[232:233], v[168:171]// 000000003FD4: D3D700A8 0EA3D1D8
	v_mfma_i32_16x16x32_i8 v[168:171], a[218:219], v[234:235], v[168:171]// 000000003FDC: D3D700A8 0EA3D5DA
	buffer_load_dwordx4 a[84:87], v39, s[24:27], 0 offen offset:1024// 000000003FE4: E05C1400 80865427
	v_mfma_i32_16x16x32_i8 v[168:171], a[220:221], v[236:237], v[168:171]// 000000003FEC: D3D700A8 0EA3D9DC
	v_mfma_i32_16x16x32_i8 v[168:171], a[222:223], v[238:239], v[168:171]// 000000003FF4: D3D700A8 0EA3DDDE
	v_mfma_i32_16x16x32_i8 v[172:175], a[208:209], v[240:241], v[172:175]// 000000003FFC: D3D700AC 0EB3E1D0
	v_mfma_i32_16x16x32_i8 v[172:175], a[210:211], v[242:243], v[172:175]// 000000004004: D3D700AC 0EB3E5D2
	buffer_load_dwordx4 a[88:91], v39, s[24:27], 0 offen offset:2048// 00000000400C: E05C1800 80865827
	v_mfma_i32_16x16x32_i8 v[172:175], a[212:213], v[244:245], v[172:175]// 000000004014: D3D700AC 0EB3E9D4
	v_mfma_i32_16x16x32_i8 v[172:175], a[214:215], v[246:247], v[172:175]// 00000000401C: D3D700AC 0EB3EDD6
	v_mfma_i32_16x16x32_i8 v[172:175], a[216:217], v[248:249], v[172:175]// 000000004024: D3D700AC 0EB3F1D8
	v_mfma_i32_16x16x32_i8 v[172:175], a[218:219], v[250:251], v[172:175]// 00000000402C: D3D700AC 0EB3F5DA
	buffer_load_dwordx4 a[92:95], v39, s[24:27], 0 offen offset:3072// 000000004034: E05C1C00 80865C27
	v_mfma_i32_16x16x32_i8 v[172:175], a[220:221], v[252:253], v[172:175]// 00000000403C: D3D700AC 0EB3F9DC
	v_mfma_i32_16x16x32_i8 v[172:175], a[222:223], v[254:255], v[172:175]// 000000004044: D3D700AC 0EB3FDDE
	s_waitcnt vmcnt(36)                                        // 00000000404C: BF8C8F74
	v_mfma_i32_16x16x32_i8 v[176:179], a[224:225], v[224:225], v[176:179]// 000000004050: D3D700B0 0EC3C1E0
	v_mfma_i32_16x16x32_i8 v[176:179], a[226:227], v[226:227], v[176:179]// 000000004058: D3D700B0 0EC3C5E2
	buffer_load_dwordx4 a[96:99], v40, s[24:27], 0 offen       // 000000004060: E05C1000 80866028
	v_mfma_i32_16x16x32_i8 v[176:179], a[228:229], v[228:229], v[176:179]// 000000004068: D3D700B0 0EC3C9E4
	v_mfma_i32_16x16x32_i8 v[176:179], a[230:231], v[230:231], v[176:179]// 000000004070: D3D700B0 0EC3CDE6
	v_mfma_i32_16x16x32_i8 v[176:179], a[232:233], v[232:233], v[176:179]// 000000004078: D3D700B0 0EC3D1E8
	v_mfma_i32_16x16x32_i8 v[176:179], a[234:235], v[234:235], v[176:179]// 000000004080: D3D700B0 0EC3D5EA
	buffer_load_dwordx4 a[100:103], v40, s[24:27], 0 offen offset:1024// 000000004088: E05C1400 80866428
	v_mfma_i32_16x16x32_i8 v[176:179], a[236:237], v[236:237], v[176:179]// 000000004090: D3D700B0 0EC3D9EC
	v_mfma_i32_16x16x32_i8 v[176:179], a[238:239], v[238:239], v[176:179]// 000000004098: D3D700B0 0EC3DDEE
	v_mfma_i32_16x16x32_i8 v[180:183], a[224:225], v[240:241], v[180:183]// 0000000040A0: D3D700B4 0ED3E1E0
	v_mfma_i32_16x16x32_i8 v[180:183], a[226:227], v[242:243], v[180:183]// 0000000040A8: D3D700B4 0ED3E5E2
	buffer_load_dwordx4 a[104:107], v40, s[24:27], 0 offen offset:2048// 0000000040B0: E05C1800 80866828
	v_mfma_i32_16x16x32_i8 v[180:183], a[228:229], v[244:245], v[180:183]// 0000000040B8: D3D700B4 0ED3E9E4
	v_mfma_i32_16x16x32_i8 v[180:183], a[230:231], v[246:247], v[180:183]// 0000000040C0: D3D700B4 0ED3EDE6
	v_mfma_i32_16x16x32_i8 v[180:183], a[232:233], v[248:249], v[180:183]// 0000000040C8: D3D700B4 0ED3F1E8
	v_mfma_i32_16x16x32_i8 v[180:183], a[234:235], v[250:251], v[180:183]// 0000000040D0: D3D700B4 0ED3F5EA
	buffer_load_dwordx4 a[108:111], v40, s[24:27], 0 offen offset:3072// 0000000040D8: E05C1C00 80866C28
	v_mfma_i32_16x16x32_i8 v[180:183], a[236:237], v[252:253], v[180:183]// 0000000040E0: D3D700B4 0ED3F9EC
	v_mfma_i32_16x16x32_i8 v[180:183], a[238:239], v[254:255], v[180:183]// 0000000040E8: D3D700B4 0ED3FDEE
	s_waitcnt vmcnt(36)                                        // 0000000040F0: BF8C8F74
	v_mfma_i32_16x16x32_i8 v[184:187], a[240:241], v[224:225], v[184:187]// 0000000040F4: D3D700B8 0EE3C1F0
	v_mfma_i32_16x16x32_i8 v[184:187], a[242:243], v[226:227], v[184:187]// 0000000040FC: D3D700B8 0EE3C5F2
	buffer_load_dwordx4 a[112:115], v41, s[24:27], 0 offen     // 000000004104: E05C1000 80867029
	v_mfma_i32_16x16x32_i8 v[184:187], a[244:245], v[228:229], v[184:187]// 00000000410C: D3D700B8 0EE3C9F4
	v_mfma_i32_16x16x32_i8 v[184:187], a[246:247], v[230:231], v[184:187]// 000000004114: D3D700B8 0EE3CDF6
	v_mfma_i32_16x16x32_i8 v[184:187], a[248:249], v[232:233], v[184:187]// 00000000411C: D3D700B8 0EE3D1F8
	v_mfma_i32_16x16x32_i8 v[184:187], a[250:251], v[234:235], v[184:187]// 000000004124: D3D700B8 0EE3D5FA
	buffer_load_dwordx4 a[116:119], v41, s[24:27], 0 offen offset:1024// 00000000412C: E05C1400 80867429
	v_mfma_i32_16x16x32_i8 v[184:187], a[252:253], v[236:237], v[184:187]// 000000004134: D3D700B8 0EE3D9FC
	v_mfma_i32_16x16x32_i8 v[184:187], a[254:255], v[238:239], v[184:187]// 00000000413C: D3D700B8 0EE3DDFE
	v_mfma_i32_16x16x32_i8 v[188:191], a[240:241], v[240:241], v[188:191]// 000000004144: D3D700BC 0EF3E1F0
	v_mfma_i32_16x16x32_i8 v[188:191], a[242:243], v[242:243], v[188:191]// 00000000414C: D3D700BC 0EF3E5F2
	buffer_load_dwordx4 a[120:123], v41, s[24:27], 0 offen offset:2048// 000000004154: E05C1800 80867829
	v_mfma_i32_16x16x32_i8 v[188:191], a[244:245], v[244:245], v[188:191]// 00000000415C: D3D700BC 0EF3E9F4
	v_mfma_i32_16x16x32_i8 v[188:191], a[246:247], v[246:247], v[188:191]// 000000004164: D3D700BC 0EF3EDF6
	v_mfma_i32_16x16x32_i8 v[188:191], a[248:249], v[248:249], v[188:191]// 00000000416C: D3D700BC 0EF3F1F8
	v_mfma_i32_16x16x32_i8 v[188:191], a[250:251], v[250:251], v[188:191]// 000000004174: D3D700BC 0EF3F5FA
	buffer_load_dwordx4 a[124:127], v41, s[24:27], 0 offen offset:3072// 00000000417C: E05C1C00 80867C29
	v_mfma_i32_16x16x32_i8 v[188:191], a[252:253], v[252:253], v[188:191]// 000000004184: D3D700BC 0EF3F9FC
	v_mfma_i32_16x16x32_i8 v[188:191], a[254:255], v[254:255], v[188:191]// 00000000418C: D3D700BC 0EF3FDFE
	s_add_u32 s60, 0x300, s80                                  // 000000004194: 803C50FF 00000300
	s_cmp_lt_u32 s60, s81                                      // 00000000419C: BF0A513C
	s_cselect_b32 s57, s57, 0                                  // 0000000041A0: 85398039
	s_add_u32 s60, 0x200, s80                                  // 0000000041A4: 803C50FF 00000200
	s_cmp_lt_u32 s60, s81                                      // 0000000041AC: BF0A513C
	s_cselect_b32 s58, s58, 0                                  // 0000000041B0: 853A803A
	s_add_u32 s20, s57, s20                                    // 0000000041B4: 80141439
	s_addc_u32 s21, 0, s21                                     // 0000000041B8: 82151580
	s_add_u32 s24, s58, s24                                    // 0000000041BC: 8018183A
	s_addc_u32 s25, 0, s25                                     // 0000000041C0: 82191980
	s_addk_i32 s80, 0x100                                      // 0000000041C4: B7500100
	s_cmp_lt_i32 s80, s81                                      // 0000000041C8: BF045150
	s_cbranch_scc0 label_05B5                                  // 0000000041CC: BF840001
	s_branch label_02A8                                        // 0000000041D0: BF82FCF3

00000000000041d4 <label_05B5>:
	s_mov_b32 s36, -1                                          // 0000000041D4: BEA400C1
	s_mov_b32 s37, -1                                          // 0000000041D8: BEA500C1
	s_mov_b64 s[60:61], 0                                      // 0000000041DC: BEBC0180
	s_cmp_lt_u32 s82, s66                                      // 0000000041E0: BF0A4252
	s_cselect_b64 s[20:21], s[36:37], s[60:61]                 // 0000000041E4: 85943C24
	s_cmp_lt_u32 s83, s66                                      // 0000000041E8: BF0A4253
	s_cselect_b64 s[22:23], s[36:37], s[60:61]                 // 0000000041EC: 85963C24
	s_cmp_lt_u32 s84, s66                                      // 0000000041F0: BF0A4254
	s_cselect_b64 s[24:25], s[36:37], s[60:61]                 // 0000000041F4: 85983C24
	s_cmp_lt_u32 s85, s66                                      // 0000000041F8: BF0A4255
	s_cselect_b64 s[26:27], s[36:37], s[60:61]                 // 0000000041FC: 859A3C24
	s_cmp_lt_u32 s86, s66                                      // 000000004200: BF0A4256
	s_cselect_b64 s[28:29], s[36:37], s[60:61]                 // 000000004204: 859C3C24
	s_cmp_lt_u32 s87, s66                                      // 000000004208: BF0A4257
	s_cselect_b64 s[30:31], s[36:37], s[60:61]                 // 00000000420C: 859E3C24
	s_cmp_lt_u32 s88, s66                                      // 000000004210: BF0A4258
	s_cselect_b64 s[32:33], s[36:37], s[60:61]                 // 000000004214: 85A03C24
	s_cmp_lt_u32 s89, s66                                      // 000000004218: BF0A4259
	s_cselect_b64 s[34:35], s[36:37], s[60:61]                 // 00000000421C: 85A23C24
	v_cvt_f32_i32_e32 v128, v128                               // 000000004220: 7F000B80
	v_cvt_f32_i32_e32 v129, v129                               // 000000004224: 7F020B81
	v_cvt_f32_i32_e32 v130, v130                               // 000000004228: 7F040B82
	v_cvt_f32_i32_e32 v131, v131                               // 00000000422C: 7F060B83
	v_mul_f32_e32 v128, v14, v128                              // 000000004230: 0B01010E
	v_mul_f32_e32 v129, v14, v129                              // 000000004234: 0B03030E
	v_mul_f32_e32 v130, v14, v130                              // 000000004238: 0B05050E
	v_mul_f32_e32 v131, v14, v131                              // 00000000423C: 0B07070E
	v_mul_f32_dpp v128, v16, v128 row_newbcast:0 row_mask:0xf bank_mask:0xf// 000000004240: 0B0100FA FF015010
	v_mul_f32_dpp v129, v16, v129 row_newbcast:1 row_mask:0xf bank_mask:0xf// 000000004248: 0B0302FA FF015110
	v_mul_f32_dpp v130, v16, v130 row_newbcast:2 row_mask:0xf bank_mask:0xf// 000000004250: 0B0504FA FF015210
	v_mul_f32_dpp v131, v16, v131 row_newbcast:3 row_mask:0xf bank_mask:0xf// 000000004258: 0B0706FA FF015310
	v_cvt_f32_i32_e32 v132, v132                               // 000000004260: 7F080B84
	v_cvt_f32_i32_e32 v133, v133                               // 000000004264: 7F0A0B85
	v_cvt_f32_i32_e32 v134, v134                               // 000000004268: 7F0C0B86
	v_cvt_f32_i32_e32 v135, v135                               // 00000000426C: 7F0E0B87
	v_mul_f32_e32 v132, v15, v132                              // 000000004270: 0B09090F
	v_mul_f32_e32 v133, v15, v133                              // 000000004274: 0B0B0B0F
	v_mul_f32_e32 v134, v15, v134                              // 000000004278: 0B0D0D0F
	v_mul_f32_e32 v135, v15, v135                              // 00000000427C: 0B0F0F0F
	v_mul_f32_dpp v132, v16, v132 row_newbcast:0 row_mask:0xf bank_mask:0xf// 000000004280: 0B0908FA FF015010
	v_mul_f32_dpp v133, v16, v133 row_newbcast:1 row_mask:0xf bank_mask:0xf// 000000004288: 0B0B0AFA FF015110
	v_mul_f32_dpp v134, v16, v134 row_newbcast:2 row_mask:0xf bank_mask:0xf// 000000004290: 0B0D0CFA FF015210
	v_mul_f32_dpp v135, v16, v135 row_newbcast:3 row_mask:0xf bank_mask:0xf// 000000004298: 0B0F0EFA FF015310
	v_cvt_f32_i32_e32 v136, v136                               // 0000000042A0: 7F100B88
	v_cvt_f32_i32_e32 v137, v137                               // 0000000042A4: 7F120B89
	v_cvt_f32_i32_e32 v138, v138                               // 0000000042A8: 7F140B8A
	v_cvt_f32_i32_e32 v139, v139                               // 0000000042AC: 7F160B8B
	v_mul_f32_e32 v136, v14, v136                              // 0000000042B0: 0B11110E
	v_mul_f32_e32 v137, v14, v137                              // 0000000042B4: 0B13130E
	v_mul_f32_e32 v138, v14, v138                              // 0000000042B8: 0B15150E
	v_mul_f32_e32 v139, v14, v139                              // 0000000042BC: 0B17170E
	v_mul_f32_dpp v136, v16, v136 row_newbcast:4 row_mask:0xf bank_mask:0xf// 0000000042C0: 0B1110FA FF015410
	v_mul_f32_dpp v137, v16, v137 row_newbcast:5 row_mask:0xf bank_mask:0xf// 0000000042C8: 0B1312FA FF015510
	v_mul_f32_dpp v138, v16, v138 row_newbcast:6 row_mask:0xf bank_mask:0xf// 0000000042D0: 0B1514FA FF015610
	v_mul_f32_dpp v139, v16, v139 row_newbcast:7 row_mask:0xf bank_mask:0xf// 0000000042D8: 0B1716FA FF015710
	v_cvt_f32_i32_e32 v140, v140                               // 0000000042E0: 7F180B8C
	v_cvt_f32_i32_e32 v141, v141                               // 0000000042E4: 7F1A0B8D
	v_cvt_f32_i32_e32 v142, v142                               // 0000000042E8: 7F1C0B8E
	v_cvt_f32_i32_e32 v143, v143                               // 0000000042EC: 7F1E0B8F
	v_mul_f32_e32 v140, v15, v140                              // 0000000042F0: 0B19190F
	v_mul_f32_e32 v141, v15, v141                              // 0000000042F4: 0B1B1B0F
	v_mul_f32_e32 v142, v15, v142                              // 0000000042F8: 0B1D1D0F
	v_mul_f32_e32 v143, v15, v143                              // 0000000042FC: 0B1F1F0F
	v_mul_f32_dpp v140, v16, v140 row_newbcast:4 row_mask:0xf bank_mask:0xf// 000000004300: 0B1918FA FF015410
	v_mul_f32_dpp v141, v16, v141 row_newbcast:5 row_mask:0xf bank_mask:0xf// 000000004308: 0B1B1AFA FF015510
	v_mul_f32_dpp v142, v16, v142 row_newbcast:6 row_mask:0xf bank_mask:0xf// 000000004310: 0B1D1CFA FF015610
	v_mul_f32_dpp v143, v16, v143 row_newbcast:7 row_mask:0xf bank_mask:0xf// 000000004318: 0B1F1EFA FF015710
	v_cvt_f32_i32_e32 v144, v144                               // 000000004320: 7F200B90
	v_cvt_f32_i32_e32 v145, v145                               // 000000004324: 7F220B91
	v_cvt_f32_i32_e32 v146, v146                               // 000000004328: 7F240B92
	v_cvt_f32_i32_e32 v147, v147                               // 00000000432C: 7F260B93
	v_mul_f32_e32 v144, v14, v144                              // 000000004330: 0B21210E
	v_mul_f32_e32 v145, v14, v145                              // 000000004334: 0B23230E
	v_mul_f32_e32 v146, v14, v146                              // 000000004338: 0B25250E
	v_mul_f32_e32 v147, v14, v147                              // 00000000433C: 0B27270E
	v_mul_f32_dpp v144, v16, v144 row_newbcast:8 row_mask:0xf bank_mask:0xf// 000000004340: 0B2120FA FF015810
	v_mul_f32_dpp v145, v16, v145 row_newbcast:9 row_mask:0xf bank_mask:0xf// 000000004348: 0B2322FA FF015910
	v_mul_f32_dpp v146, v16, v146 row_newbcast:10 row_mask:0xf bank_mask:0xf// 000000004350: 0B2524FA FF015A10
	v_mul_f32_dpp v147, v16, v147 row_newbcast:11 row_mask:0xf bank_mask:0xf// 000000004358: 0B2726FA FF015B10
	v_cvt_f32_i32_e32 v148, v148                               // 000000004360: 7F280B94
	v_cvt_f32_i32_e32 v149, v149                               // 000000004364: 7F2A0B95
	v_cvt_f32_i32_e32 v150, v150                               // 000000004368: 7F2C0B96
	v_cvt_f32_i32_e32 v151, v151                               // 00000000436C: 7F2E0B97
	v_mul_f32_e32 v148, v15, v148                              // 000000004370: 0B29290F
	v_mul_f32_e32 v149, v15, v149                              // 000000004374: 0B2B2B0F
	v_mul_f32_e32 v150, v15, v150                              // 000000004378: 0B2D2D0F
	v_mul_f32_e32 v151, v15, v151                              // 00000000437C: 0B2F2F0F
	v_mul_f32_dpp v148, v16, v148 row_newbcast:8 row_mask:0xf bank_mask:0xf// 000000004380: 0B2928FA FF015810
	v_mul_f32_dpp v149, v16, v149 row_newbcast:9 row_mask:0xf bank_mask:0xf// 000000004388: 0B2B2AFA FF015910
	v_mul_f32_dpp v150, v16, v150 row_newbcast:10 row_mask:0xf bank_mask:0xf// 000000004390: 0B2D2CFA FF015A10
	v_mul_f32_dpp v151, v16, v151 row_newbcast:11 row_mask:0xf bank_mask:0xf// 000000004398: 0B2F2EFA FF015B10
	v_cvt_f32_i32_e32 v152, v152                               // 0000000043A0: 7F300B98
	v_cvt_f32_i32_e32 v153, v153                               // 0000000043A4: 7F320B99
	v_cvt_f32_i32_e32 v154, v154                               // 0000000043A8: 7F340B9A
	v_cvt_f32_i32_e32 v155, v155                               // 0000000043AC: 7F360B9B
	v_mul_f32_e32 v152, v14, v152                              // 0000000043B0: 0B31310E
	v_mul_f32_e32 v153, v14, v153                              // 0000000043B4: 0B33330E
	v_mul_f32_e32 v154, v14, v154                              // 0000000043B8: 0B35350E
	v_mul_f32_e32 v155, v14, v155                              // 0000000043BC: 0B37370E
	v_mul_f32_dpp v152, v16, v152 row_newbcast:12 row_mask:0xf bank_mask:0xf// 0000000043C0: 0B3130FA FF015C10
	v_mul_f32_dpp v153, v16, v153 row_newbcast:13 row_mask:0xf bank_mask:0xf// 0000000043C8: 0B3332FA FF015D10
	v_mul_f32_dpp v154, v16, v154 row_newbcast:14 row_mask:0xf bank_mask:0xf// 0000000043D0: 0B3534FA FF015E10
	v_mul_f32_dpp v155, v16, v155 row_newbcast:15 row_mask:0xf bank_mask:0xf// 0000000043D8: 0B3736FA FF015F10
	v_cvt_f32_i32_e32 v156, v156                               // 0000000043E0: 7F380B9C
	v_cvt_f32_i32_e32 v157, v157                               // 0000000043E4: 7F3A0B9D
	v_cvt_f32_i32_e32 v158, v158                               // 0000000043E8: 7F3C0B9E
	v_cvt_f32_i32_e32 v159, v159                               // 0000000043EC: 7F3E0B9F
	v_mul_f32_e32 v156, v15, v156                              // 0000000043F0: 0B39390F
	v_mul_f32_e32 v157, v15, v157                              // 0000000043F4: 0B3B3B0F
	v_mul_f32_e32 v158, v15, v158                              // 0000000043F8: 0B3D3D0F
	v_mul_f32_e32 v159, v15, v159                              // 0000000043FC: 0B3F3F0F
	v_mul_f32_dpp v156, v16, v156 row_newbcast:12 row_mask:0xf bank_mask:0xf// 000000004400: 0B3938FA FF015C10
	v_mul_f32_dpp v157, v16, v157 row_newbcast:13 row_mask:0xf bank_mask:0xf// 000000004408: 0B3B3AFA FF015D10
	v_mul_f32_dpp v158, v16, v158 row_newbcast:14 row_mask:0xf bank_mask:0xf// 000000004410: 0B3D3CFA FF015E10
	v_mul_f32_dpp v159, v16, v159 row_newbcast:15 row_mask:0xf bank_mask:0xf// 000000004418: 0B3F3EFA FF015F10
	v_cvt_f32_i32_e32 v160, v160                               // 000000004420: 7F400BA0
	v_cvt_f32_i32_e32 v161, v161                               // 000000004424: 7F420BA1
	v_cvt_f32_i32_e32 v162, v162                               // 000000004428: 7F440BA2
	v_cvt_f32_i32_e32 v163, v163                               // 00000000442C: 7F460BA3
	v_mul_f32_e32 v160, v14, v160                              // 000000004430: 0B41410E
	v_mul_f32_e32 v161, v14, v161                              // 000000004434: 0B43430E
	v_mul_f32_e32 v162, v14, v162                              // 000000004438: 0B45450E
	v_mul_f32_e32 v163, v14, v163                              // 00000000443C: 0B47470E
	v_mul_f32_dpp v160, v17, v160 row_newbcast:0 row_mask:0xf bank_mask:0xf// 000000004440: 0B4140FA FF015011
	v_mul_f32_dpp v161, v17, v161 row_newbcast:1 row_mask:0xf bank_mask:0xf// 000000004448: 0B4342FA FF015111
	v_mul_f32_dpp v162, v17, v162 row_newbcast:2 row_mask:0xf bank_mask:0xf// 000000004450: 0B4544FA FF015211
	v_mul_f32_dpp v163, v17, v163 row_newbcast:3 row_mask:0xf bank_mask:0xf// 000000004458: 0B4746FA FF015311
	v_cvt_f32_i32_e32 v164, v164                               // 000000004460: 7F480BA4
	v_cvt_f32_i32_e32 v165, v165                               // 000000004464: 7F4A0BA5
	v_cvt_f32_i32_e32 v166, v166                               // 000000004468: 7F4C0BA6
	v_cvt_f32_i32_e32 v167, v167                               // 00000000446C: 7F4E0BA7
	v_mul_f32_e32 v164, v15, v164                              // 000000004470: 0B49490F
	v_mul_f32_e32 v165, v15, v165                              // 000000004474: 0B4B4B0F
	v_mul_f32_e32 v166, v15, v166                              // 000000004478: 0B4D4D0F
	v_mul_f32_e32 v167, v15, v167                              // 00000000447C: 0B4F4F0F
	v_mul_f32_dpp v164, v17, v164 row_newbcast:0 row_mask:0xf bank_mask:0xf// 000000004480: 0B4948FA FF015011
	v_mul_f32_dpp v165, v17, v165 row_newbcast:1 row_mask:0xf bank_mask:0xf// 000000004488: 0B4B4AFA FF015111
	v_mul_f32_dpp v166, v17, v166 row_newbcast:2 row_mask:0xf bank_mask:0xf// 000000004490: 0B4D4CFA FF015211
	v_mul_f32_dpp v167, v17, v167 row_newbcast:3 row_mask:0xf bank_mask:0xf// 000000004498: 0B4F4EFA FF015311
	v_cvt_f32_i32_e32 v168, v168                               // 0000000044A0: 7F500BA8
	v_cvt_f32_i32_e32 v169, v169                               // 0000000044A4: 7F520BA9
	v_cvt_f32_i32_e32 v170, v170                               // 0000000044A8: 7F540BAA
	v_cvt_f32_i32_e32 v171, v171                               // 0000000044AC: 7F560BAB
	v_mul_f32_e32 v168, v14, v168                              // 0000000044B0: 0B51510E
	v_mul_f32_e32 v169, v14, v169                              // 0000000044B4: 0B53530E
	v_mul_f32_e32 v170, v14, v170                              // 0000000044B8: 0B55550E
	v_mul_f32_e32 v171, v14, v171                              // 0000000044BC: 0B57570E
	v_mul_f32_dpp v168, v17, v168 row_newbcast:4 row_mask:0xf bank_mask:0xf// 0000000044C0: 0B5150FA FF015411
	v_mul_f32_dpp v169, v17, v169 row_newbcast:5 row_mask:0xf bank_mask:0xf// 0000000044C8: 0B5352FA FF015511
	v_mul_f32_dpp v170, v17, v170 row_newbcast:6 row_mask:0xf bank_mask:0xf// 0000000044D0: 0B5554FA FF015611
	v_mul_f32_dpp v171, v17, v171 row_newbcast:7 row_mask:0xf bank_mask:0xf// 0000000044D8: 0B5756FA FF015711
	v_cvt_f32_i32_e32 v172, v172                               // 0000000044E0: 7F580BAC
	v_cvt_f32_i32_e32 v173, v173                               // 0000000044E4: 7F5A0BAD
	v_cvt_f32_i32_e32 v174, v174                               // 0000000044E8: 7F5C0BAE
	v_cvt_f32_i32_e32 v175, v175                               // 0000000044EC: 7F5E0BAF
	v_mul_f32_e32 v172, v15, v172                              // 0000000044F0: 0B59590F
	v_mul_f32_e32 v173, v15, v173                              // 0000000044F4: 0B5B5B0F
	v_mul_f32_e32 v174, v15, v174                              // 0000000044F8: 0B5D5D0F
	v_mul_f32_e32 v175, v15, v175                              // 0000000044FC: 0B5F5F0F
	v_mul_f32_dpp v172, v17, v172 row_newbcast:4 row_mask:0xf bank_mask:0xf// 000000004500: 0B5958FA FF015411
	v_mul_f32_dpp v173, v17, v173 row_newbcast:5 row_mask:0xf bank_mask:0xf// 000000004508: 0B5B5AFA FF015511
	v_mul_f32_dpp v174, v17, v174 row_newbcast:6 row_mask:0xf bank_mask:0xf// 000000004510: 0B5D5CFA FF015611
	v_mul_f32_dpp v175, v17, v175 row_newbcast:7 row_mask:0xf bank_mask:0xf// 000000004518: 0B5F5EFA FF015711
	v_cvt_f32_i32_e32 v176, v176                               // 000000004520: 7F600BB0
	v_cvt_f32_i32_e32 v177, v177                               // 000000004524: 7F620BB1
	v_cvt_f32_i32_e32 v178, v178                               // 000000004528: 7F640BB2
	v_cvt_f32_i32_e32 v179, v179                               // 00000000452C: 7F660BB3
	v_mul_f32_e32 v176, v14, v176                              // 000000004530: 0B61610E
	v_mul_f32_e32 v177, v14, v177                              // 000000004534: 0B63630E
	v_mul_f32_e32 v178, v14, v178                              // 000000004538: 0B65650E
	v_mul_f32_e32 v179, v14, v179                              // 00000000453C: 0B67670E
	v_mul_f32_dpp v176, v17, v176 row_newbcast:8 row_mask:0xf bank_mask:0xf// 000000004540: 0B6160FA FF015811
	v_mul_f32_dpp v177, v17, v177 row_newbcast:9 row_mask:0xf bank_mask:0xf// 000000004548: 0B6362FA FF015911
	v_mul_f32_dpp v178, v17, v178 row_newbcast:10 row_mask:0xf bank_mask:0xf// 000000004550: 0B6564FA FF015A11
	v_mul_f32_dpp v179, v17, v179 row_newbcast:11 row_mask:0xf bank_mask:0xf// 000000004558: 0B6766FA FF015B11
	v_cvt_f32_i32_e32 v180, v180                               // 000000004560: 7F680BB4
	v_cvt_f32_i32_e32 v181, v181                               // 000000004564: 7F6A0BB5
	v_cvt_f32_i32_e32 v182, v182                               // 000000004568: 7F6C0BB6
	v_cvt_f32_i32_e32 v183, v183                               // 00000000456C: 7F6E0BB7
	v_mul_f32_e32 v180, v15, v180                              // 000000004570: 0B69690F
	v_mul_f32_e32 v181, v15, v181                              // 000000004574: 0B6B6B0F
	v_mul_f32_e32 v182, v15, v182                              // 000000004578: 0B6D6D0F
	v_mul_f32_e32 v183, v15, v183                              // 00000000457C: 0B6F6F0F
	v_mul_f32_dpp v180, v17, v180 row_newbcast:8 row_mask:0xf bank_mask:0xf// 000000004580: 0B6968FA FF015811
	v_mul_f32_dpp v181, v17, v181 row_newbcast:9 row_mask:0xf bank_mask:0xf// 000000004588: 0B6B6AFA FF015911
	v_mul_f32_dpp v182, v17, v182 row_newbcast:10 row_mask:0xf bank_mask:0xf// 000000004590: 0B6D6CFA FF015A11
	v_mul_f32_dpp v183, v17, v183 row_newbcast:11 row_mask:0xf bank_mask:0xf// 000000004598: 0B6F6EFA FF015B11
	v_cvt_f32_i32_e32 v184, v184                               // 0000000045A0: 7F700BB8
	v_cvt_f32_i32_e32 v185, v185                               // 0000000045A4: 7F720BB9
	v_cvt_f32_i32_e32 v186, v186                               // 0000000045A8: 7F740BBA
	v_cvt_f32_i32_e32 v187, v187                               // 0000000045AC: 7F760BBB
	v_mul_f32_e32 v184, v14, v184                              // 0000000045B0: 0B71710E
	v_mul_f32_e32 v185, v14, v185                              // 0000000045B4: 0B73730E
	v_mul_f32_e32 v186, v14, v186                              // 0000000045B8: 0B75750E
	v_mul_f32_e32 v187, v14, v187                              // 0000000045BC: 0B77770E
	v_mul_f32_dpp v184, v17, v184 row_newbcast:12 row_mask:0xf bank_mask:0xf// 0000000045C0: 0B7170FA FF015C11
	v_mul_f32_dpp v185, v17, v185 row_newbcast:13 row_mask:0xf bank_mask:0xf// 0000000045C8: 0B7372FA FF015D11
	v_mul_f32_dpp v186, v17, v186 row_newbcast:14 row_mask:0xf bank_mask:0xf// 0000000045D0: 0B7574FA FF015E11
	v_mul_f32_dpp v187, v17, v187 row_newbcast:15 row_mask:0xf bank_mask:0xf// 0000000045D8: 0B7776FA FF015F11
	v_cvt_f32_i32_e32 v188, v188                               // 0000000045E0: 7F780BBC
	v_cvt_f32_i32_e32 v189, v189                               // 0000000045E4: 7F7A0BBD
	v_cvt_f32_i32_e32 v190, v190                               // 0000000045E8: 7F7C0BBE
	v_cvt_f32_i32_e32 v191, v191                               // 0000000045EC: 7F7E0BBF
	v_mul_f32_e32 v188, v15, v188                              // 0000000045F0: 0B79790F
	v_mul_f32_e32 v189, v15, v189                              // 0000000045F4: 0B7B7B0F
	v_mul_f32_e32 v190, v15, v190                              // 0000000045F8: 0B7D7D0F
	v_mul_f32_e32 v191, v15, v191                              // 0000000045FC: 0B7F7F0F
	v_mul_f32_dpp v188, v17, v188 row_newbcast:12 row_mask:0xf bank_mask:0xf// 000000004600: 0B7978FA FF015C11
	v_mul_f32_dpp v189, v17, v189 row_newbcast:13 row_mask:0xf bank_mask:0xf// 000000004608: 0B7B7AFA FF015D11
	v_mul_f32_dpp v190, v17, v190 row_newbcast:14 row_mask:0xf bank_mask:0xf// 000000004610: 0B7D7CFA FF015E11
	v_mul_f32_dpp v191, v17, v191 row_newbcast:15 row_mask:0xf bank_mask:0xf// 000000004618: 0B7F7EFA FF015F11
	s_waitcnt vmcnt(28)                                        // 000000004620: BF8C4F7C
	buffer_load_dwordx4 a[0:3], v42, s[12:15], 0 offen         // 000000004624: E05C1000 8083002A
	v_mul_f32_e32 v50, v128, v128                              // 00000000462C: 0A650180
	v_mul_f32_e32 v51, v129, v129                              // 000000004630: 0A670381
	v_mul_f32_e32 v52, v130, v130                              // 000000004634: 0A690582
	v_mul_f32_e32 v53, v131, v131                              // 000000004638: 0A6B0783
	v_fma_f32 v50, v50, s77, v1                                // 00000000463C: D1CB0032 04049B32
	v_fma_f32 v51, v51, s77, v1                                // 000000004644: D1CB0033 04049B33
	v_fma_f32 v52, v52, s77, v1                                // 00000000464C: D1CB0034 04049B34
	v_fma_f32 v53, v53, s77, v1                                // 000000004654: D1CB0035 04049B35
	v_mul_f32_e32 v50, v50, v128                               // 00000000465C: 0A650132
	v_mul_f32_e32 v51, v51, v129                               // 000000004660: 0A670333
	v_mul_f32_e32 v52, v52, v130                               // 000000004664: 0A690534
	v_mul_f32_e32 v53, v53, v131                               // 000000004668: 0A6B0735
	v_mul_f32_e64 v50, v50, s6                                 // 00000000466C: D1050032 00000D32
	v_mul_f32_e64 v51, v51, s6                                 // 000000004674: D1050033 00000D33
	v_mul_f32_e64 v52, v52, s6                                 // 00000000467C: D1050034 00000D34
	v_mul_f32_e64 v53, v53, s6                                 // 000000004684: D1050035 00000D35
	v_exp_f32_e32 v50, v50                                     // 00000000468C: 7E644132
	v_exp_f32_e32 v51, v51                                     // 000000004690: 7E664133
	v_exp_f32_e32 v52, v52                                     // 000000004694: 7E684134
	v_exp_f32_e32 v53, v53                                     // 000000004698: 7E6A4135
	buffer_load_dwordx4 a[4:7], v43, s[12:15], 0 offen         // 00000000469C: E05C1000 8083042B
	v_add_f32_e64 v50, v50, 1.0                                // 0000000046A4: D1010032 0001E532
	v_add_f32_e64 v51, v51, 1.0                                // 0000000046AC: D1010033 0001E533
	v_add_f32_e64 v52, v52, 1.0                                // 0000000046B4: D1010034 0001E534
	v_add_f32_e64 v53, v53, 1.0                                // 0000000046BC: D1010035 0001E535
	v_rcp_f32_e32 v50, v50                                     // 0000000046C4: 7E644532
	v_rcp_f32_e32 v51, v51                                     // 0000000046C8: 7E664533
	v_rcp_f32_e32 v52, v52                                     // 0000000046CC: 7E684534
	v_rcp_f32_e32 v53, v53                                     // 0000000046D0: 7E6A4535
	v_mul_f32_e32 v128, v128, v50                              // 0000000046D4: 0B006580
	v_mul_f32_e32 v129, v129, v51                              // 0000000046D8: 0B026781
	v_mul_f32_e32 v130, v130, v52                              // 0000000046DC: 0B046982
	v_mul_f32_e32 v131, v131, v53                              // 0000000046E0: 0B066B83
	buffer_load_dwordx4 a[8:11], v44, s[12:15], 0 offen        // 0000000046E4: E05C1000 8083082C
	v_mul_f32_e32 v50, v132, v132                              // 0000000046EC: 0A650984
	v_mul_f32_e32 v51, v133, v133                              // 0000000046F0: 0A670B85
	v_mul_f32_e32 v52, v134, v134                              // 0000000046F4: 0A690D86
	v_mul_f32_e32 v53, v135, v135                              // 0000000046F8: 0A6B0F87
	v_fma_f32 v50, v50, s77, v1                                // 0000000046FC: D1CB0032 04049B32
	v_fma_f32 v51, v51, s77, v1                                // 000000004704: D1CB0033 04049B33
	v_fma_f32 v52, v52, s77, v1                                // 00000000470C: D1CB0034 04049B34
	v_fma_f32 v53, v53, s77, v1                                // 000000004714: D1CB0035 04049B35
	v_mul_f32_e32 v50, v50, v132                               // 00000000471C: 0A650932
	v_mul_f32_e32 v51, v51, v133                               // 000000004720: 0A670B33
	v_mul_f32_e32 v52, v52, v134                               // 000000004724: 0A690D34
	v_mul_f32_e32 v53, v53, v135                               // 000000004728: 0A6B0F35
	v_mul_f32_e64 v50, v50, s6                                 // 00000000472C: D1050032 00000D32
	v_mul_f32_e64 v51, v51, s6                                 // 000000004734: D1050033 00000D33
	v_mul_f32_e64 v52, v52, s6                                 // 00000000473C: D1050034 00000D34
	v_mul_f32_e64 v53, v53, s6                                 // 000000004744: D1050035 00000D35
	v_exp_f32_e32 v50, v50                                     // 00000000474C: 7E644132
	v_exp_f32_e32 v51, v51                                     // 000000004750: 7E664133
	v_exp_f32_e32 v52, v52                                     // 000000004754: 7E684134
	v_exp_f32_e32 v53, v53                                     // 000000004758: 7E6A4135
	buffer_load_dwordx4 a[12:15], v45, s[12:15], 0 offen       // 00000000475C: E05C1000 80830C2D
	s_add_u32 s12, s78, s12                                    // 000000004764: 800C0C4E
	s_addc_u32 s13, 0, s13                                     // 000000004768: 820D0D80
	v_add_f32_e64 v50, v50, 1.0                                // 00000000476C: D1010032 0001E532
	v_add_f32_e64 v51, v51, 1.0                                // 000000004774: D1010033 0001E533
	v_add_f32_e64 v52, v52, 1.0                                // 00000000477C: D1010034 0001E534
	v_add_f32_e64 v53, v53, 1.0                                // 000000004784: D1010035 0001E535
	v_rcp_f32_e32 v50, v50                                     // 00000000478C: 7E644532
	v_rcp_f32_e32 v51, v51                                     // 000000004790: 7E664533
	v_rcp_f32_e32 v52, v52                                     // 000000004794: 7E684534
	v_rcp_f32_e32 v53, v53                                     // 000000004798: 7E6A4535
	v_mul_f32_e32 v132, v132, v50                              // 00000000479C: 0B086584
	v_mul_f32_e32 v133, v133, v51                              // 0000000047A0: 0B0A6785
	v_mul_f32_e32 v134, v134, v52                              // 0000000047A4: 0B0C6986
	v_mul_f32_e32 v135, v135, v53                              // 0000000047A8: 0B0E6B87
	s_waitcnt vmcnt(28)                                        // 0000000047AC: BF8C4F7C
	buffer_load_dwordx4 a[16:19], v42, s[12:15], 0 offen       // 0000000047B0: E05C1000 8083102A
	v_mul_f32_e32 v50, v136, v136                              // 0000000047B8: 0A651188
	v_mul_f32_e32 v51, v137, v137                              // 0000000047BC: 0A671389
	v_mul_f32_e32 v52, v138, v138                              // 0000000047C0: 0A69158A
	v_mul_f32_e32 v53, v139, v139                              // 0000000047C4: 0A6B178B
	v_fma_f32 v50, v50, s77, v1                                // 0000000047C8: D1CB0032 04049B32
	v_fma_f32 v51, v51, s77, v1                                // 0000000047D0: D1CB0033 04049B33
	v_fma_f32 v52, v52, s77, v1                                // 0000000047D8: D1CB0034 04049B34
	v_fma_f32 v53, v53, s77, v1                                // 0000000047E0: D1CB0035 04049B35
	v_mul_f32_e32 v50, v50, v136                               // 0000000047E8: 0A651132
	v_mul_f32_e32 v51, v51, v137                               // 0000000047EC: 0A671333
	v_mul_f32_e32 v52, v52, v138                               // 0000000047F0: 0A691534
	v_mul_f32_e32 v53, v53, v139                               // 0000000047F4: 0A6B1735
	v_mul_f32_e64 v50, v50, s6                                 // 0000000047F8: D1050032 00000D32
	v_mul_f32_e64 v51, v51, s6                                 // 000000004800: D1050033 00000D33
	v_mul_f32_e64 v52, v52, s6                                 // 000000004808: D1050034 00000D34
	v_mul_f32_e64 v53, v53, s6                                 // 000000004810: D1050035 00000D35
	v_exp_f32_e32 v50, v50                                     // 000000004818: 7E644132
	v_exp_f32_e32 v51, v51                                     // 00000000481C: 7E664133
	v_exp_f32_e32 v52, v52                                     // 000000004820: 7E684134
	v_exp_f32_e32 v53, v53                                     // 000000004824: 7E6A4135
	buffer_load_dwordx4 a[20:23], v43, s[12:15], 0 offen       // 000000004828: E05C1000 8083142B
	v_add_f32_e64 v50, v50, 1.0                                // 000000004830: D1010032 0001E532
	v_add_f32_e64 v51, v51, 1.0                                // 000000004838: D1010033 0001E533
	v_add_f32_e64 v52, v52, 1.0                                // 000000004840: D1010034 0001E534
	v_add_f32_e64 v53, v53, 1.0                                // 000000004848: D1010035 0001E535
	v_rcp_f32_e32 v50, v50                                     // 000000004850: 7E644532
	v_rcp_f32_e32 v51, v51                                     // 000000004854: 7E664533
	v_rcp_f32_e32 v52, v52                                     // 000000004858: 7E684534
	v_rcp_f32_e32 v53, v53                                     // 00000000485C: 7E6A4535
	v_mul_f32_e32 v136, v136, v50                              // 000000004860: 0B106588
	v_mul_f32_e32 v137, v137, v51                              // 000000004864: 0B126789
	v_mul_f32_e32 v138, v138, v52                              // 000000004868: 0B14698A
	v_mul_f32_e32 v139, v139, v53                              // 00000000486C: 0B166B8B
	buffer_load_dwordx4 a[24:27], v44, s[12:15], 0 offen       // 000000004870: E05C1000 8083182C
	v_mul_f32_e32 v50, v140, v140                              // 000000004878: 0A65198C
	v_mul_f32_e32 v51, v141, v141                              // 00000000487C: 0A671B8D
	v_mul_f32_e32 v52, v142, v142                              // 000000004880: 0A691D8E
	v_mul_f32_e32 v53, v143, v143                              // 000000004884: 0A6B1F8F
	v_fma_f32 v50, v50, s77, v1                                // 000000004888: D1CB0032 04049B32
	v_fma_f32 v51, v51, s77, v1                                // 000000004890: D1CB0033 04049B33
	v_fma_f32 v52, v52, s77, v1                                // 000000004898: D1CB0034 04049B34
	v_fma_f32 v53, v53, s77, v1                                // 0000000048A0: D1CB0035 04049B35
	v_mul_f32_e32 v50, v50, v140                               // 0000000048A8: 0A651932
	v_mul_f32_e32 v51, v51, v141                               // 0000000048AC: 0A671B33
	v_mul_f32_e32 v52, v52, v142                               // 0000000048B0: 0A691D34
	v_mul_f32_e32 v53, v53, v143                               // 0000000048B4: 0A6B1F35
	v_mul_f32_e64 v50, v50, s6                                 // 0000000048B8: D1050032 00000D32
	v_mul_f32_e64 v51, v51, s6                                 // 0000000048C0: D1050033 00000D33
	v_mul_f32_e64 v52, v52, s6                                 // 0000000048C8: D1050034 00000D34
	v_mul_f32_e64 v53, v53, s6                                 // 0000000048D0: D1050035 00000D35
	v_exp_f32_e32 v50, v50                                     // 0000000048D8: 7E644132
	v_exp_f32_e32 v51, v51                                     // 0000000048DC: 7E664133
	v_exp_f32_e32 v52, v52                                     // 0000000048E0: 7E684134
	v_exp_f32_e32 v53, v53                                     // 0000000048E4: 7E6A4135
	buffer_load_dwordx4 a[28:31], v45, s[12:15], 0 offen       // 0000000048E8: E05C1000 80831C2D
	s_add_u32 s12, s78, s12                                    // 0000000048F0: 800C0C4E
	s_addc_u32 s13, 0, s13                                     // 0000000048F4: 820D0D80
	v_add_f32_e64 v50, v50, 1.0                                // 0000000048F8: D1010032 0001E532
	v_add_f32_e64 v51, v51, 1.0                                // 000000004900: D1010033 0001E533
	v_add_f32_e64 v52, v52, 1.0                                // 000000004908: D1010034 0001E534
	v_add_f32_e64 v53, v53, 1.0                                // 000000004910: D1010035 0001E535
	v_rcp_f32_e32 v50, v50                                     // 000000004918: 7E644532
	v_rcp_f32_e32 v51, v51                                     // 00000000491C: 7E664533
	v_rcp_f32_e32 v52, v52                                     // 000000004920: 7E684534
	v_rcp_f32_e32 v53, v53                                     // 000000004924: 7E6A4535
	v_mul_f32_e32 v140, v140, v50                              // 000000004928: 0B18658C
	v_mul_f32_e32 v141, v141, v51                              // 00000000492C: 0B1A678D
	v_mul_f32_e32 v142, v142, v52                              // 000000004930: 0B1C698E
	v_mul_f32_e32 v143, v143, v53                              // 000000004934: 0B1E6B8F
	s_waitcnt vmcnt(28)                                        // 000000004938: BF8C4F7C
	buffer_load_dwordx4 a[32:35], v42, s[12:15], 0 offen       // 00000000493C: E05C1000 8083202A
	v_mul_f32_e32 v50, v144, v144                              // 000000004944: 0A652190
	v_mul_f32_e32 v51, v145, v145                              // 000000004948: 0A672391
	v_mul_f32_e32 v52, v146, v146                              // 00000000494C: 0A692592
	v_mul_f32_e32 v53, v147, v147                              // 000000004950: 0A6B2793
	v_fma_f32 v50, v50, s77, v1                                // 000000004954: D1CB0032 04049B32
	v_fma_f32 v51, v51, s77, v1                                // 00000000495C: D1CB0033 04049B33
	v_fma_f32 v52, v52, s77, v1                                // 000000004964: D1CB0034 04049B34
	v_fma_f32 v53, v53, s77, v1                                // 00000000496C: D1CB0035 04049B35
	v_mul_f32_e32 v50, v50, v144                               // 000000004974: 0A652132
	v_mul_f32_e32 v51, v51, v145                               // 000000004978: 0A672333
	v_mul_f32_e32 v52, v52, v146                               // 00000000497C: 0A692534
	v_mul_f32_e32 v53, v53, v147                               // 000000004980: 0A6B2735
	v_mul_f32_e64 v50, v50, s6                                 // 000000004984: D1050032 00000D32
	v_mul_f32_e64 v51, v51, s6                                 // 00000000498C: D1050033 00000D33
	v_mul_f32_e64 v52, v52, s6                                 // 000000004994: D1050034 00000D34
	v_mul_f32_e64 v53, v53, s6                                 // 00000000499C: D1050035 00000D35
	v_exp_f32_e32 v50, v50                                     // 0000000049A4: 7E644132
	v_exp_f32_e32 v51, v51                                     // 0000000049A8: 7E664133
	v_exp_f32_e32 v52, v52                                     // 0000000049AC: 7E684134
	v_exp_f32_e32 v53, v53                                     // 0000000049B0: 7E6A4135
	buffer_load_dwordx4 a[36:39], v43, s[12:15], 0 offen       // 0000000049B4: E05C1000 8083242B
	v_add_f32_e64 v50, v50, 1.0                                // 0000000049BC: D1010032 0001E532
	v_add_f32_e64 v51, v51, 1.0                                // 0000000049C4: D1010033 0001E533
	v_add_f32_e64 v52, v52, 1.0                                // 0000000049CC: D1010034 0001E534
	v_add_f32_e64 v53, v53, 1.0                                // 0000000049D4: D1010035 0001E535
	v_rcp_f32_e32 v50, v50                                     // 0000000049DC: 7E644532
	v_rcp_f32_e32 v51, v51                                     // 0000000049E0: 7E664533
	v_rcp_f32_e32 v52, v52                                     // 0000000049E4: 7E684534
	v_rcp_f32_e32 v53, v53                                     // 0000000049E8: 7E6A4535
	v_mul_f32_e32 v144, v144, v50                              // 0000000049EC: 0B206590
	v_mul_f32_e32 v145, v145, v51                              // 0000000049F0: 0B226791
	v_mul_f32_e32 v146, v146, v52                              // 0000000049F4: 0B246992
	v_mul_f32_e32 v147, v147, v53                              // 0000000049F8: 0B266B93
	buffer_load_dwordx4 a[40:43], v44, s[12:15], 0 offen       // 0000000049FC: E05C1000 8083282C
	v_mul_f32_e32 v50, v148, v148                              // 000000004A04: 0A652994
	v_mul_f32_e32 v51, v149, v149                              // 000000004A08: 0A672B95
	v_mul_f32_e32 v52, v150, v150                              // 000000004A0C: 0A692D96
	v_mul_f32_e32 v53, v151, v151                              // 000000004A10: 0A6B2F97
	v_fma_f32 v50, v50, s77, v1                                // 000000004A14: D1CB0032 04049B32
	v_fma_f32 v51, v51, s77, v1                                // 000000004A1C: D1CB0033 04049B33
	v_fma_f32 v52, v52, s77, v1                                // 000000004A24: D1CB0034 04049B34
	v_fma_f32 v53, v53, s77, v1                                // 000000004A2C: D1CB0035 04049B35
	v_mul_f32_e32 v50, v50, v148                               // 000000004A34: 0A652932
	v_mul_f32_e32 v51, v51, v149                               // 000000004A38: 0A672B33
	v_mul_f32_e32 v52, v52, v150                               // 000000004A3C: 0A692D34
	v_mul_f32_e32 v53, v53, v151                               // 000000004A40: 0A6B2F35
	v_mul_f32_e64 v50, v50, s6                                 // 000000004A44: D1050032 00000D32
	v_mul_f32_e64 v51, v51, s6                                 // 000000004A4C: D1050033 00000D33
	v_mul_f32_e64 v52, v52, s6                                 // 000000004A54: D1050034 00000D34
	v_mul_f32_e64 v53, v53, s6                                 // 000000004A5C: D1050035 00000D35
	v_exp_f32_e32 v50, v50                                     // 000000004A64: 7E644132
	v_exp_f32_e32 v51, v51                                     // 000000004A68: 7E664133
	v_exp_f32_e32 v52, v52                                     // 000000004A6C: 7E684134
	v_exp_f32_e32 v53, v53                                     // 000000004A70: 7E6A4135
	buffer_load_dwordx4 a[44:47], v45, s[12:15], 0 offen       // 000000004A74: E05C1000 80832C2D
	s_add_u32 s12, s78, s12                                    // 000000004A7C: 800C0C4E
	s_addc_u32 s13, 0, s13                                     // 000000004A80: 820D0D80
	v_add_f32_e64 v50, v50, 1.0                                // 000000004A84: D1010032 0001E532
	v_add_f32_e64 v51, v51, 1.0                                // 000000004A8C: D1010033 0001E533
	v_add_f32_e64 v52, v52, 1.0                                // 000000004A94: D1010034 0001E534
	v_add_f32_e64 v53, v53, 1.0                                // 000000004A9C: D1010035 0001E535
	v_rcp_f32_e32 v50, v50                                     // 000000004AA4: 7E644532
	v_rcp_f32_e32 v51, v51                                     // 000000004AA8: 7E664533
	v_rcp_f32_e32 v52, v52                                     // 000000004AAC: 7E684534
	v_rcp_f32_e32 v53, v53                                     // 000000004AB0: 7E6A4535
	v_mul_f32_e32 v148, v148, v50                              // 000000004AB4: 0B286594
	v_mul_f32_e32 v149, v149, v51                              // 000000004AB8: 0B2A6795
	v_mul_f32_e32 v150, v150, v52                              // 000000004ABC: 0B2C6996
	v_mul_f32_e32 v151, v151, v53                              // 000000004AC0: 0B2E6B97
	s_waitcnt vmcnt(28)                                        // 000000004AC4: BF8C4F7C
	buffer_load_dwordx4 a[48:51], v42, s[12:15], 0 offen       // 000000004AC8: E05C1000 8083302A
	v_mul_f32_e32 v50, v152, v152                              // 000000004AD0: 0A653198
	v_mul_f32_e32 v51, v153, v153                              // 000000004AD4: 0A673399
	v_mul_f32_e32 v52, v154, v154                              // 000000004AD8: 0A69359A
	v_mul_f32_e32 v53, v155, v155                              // 000000004ADC: 0A6B379B
	v_fma_f32 v50, v50, s77, v1                                // 000000004AE0: D1CB0032 04049B32
	v_fma_f32 v51, v51, s77, v1                                // 000000004AE8: D1CB0033 04049B33
	v_fma_f32 v52, v52, s77, v1                                // 000000004AF0: D1CB0034 04049B34
	v_fma_f32 v53, v53, s77, v1                                // 000000004AF8: D1CB0035 04049B35
	v_mul_f32_e32 v50, v50, v152                               // 000000004B00: 0A653132
	v_mul_f32_e32 v51, v51, v153                               // 000000004B04: 0A673333
	v_mul_f32_e32 v52, v52, v154                               // 000000004B08: 0A693534
	v_mul_f32_e32 v53, v53, v155                               // 000000004B0C: 0A6B3735
	v_mul_f32_e64 v50, v50, s6                                 // 000000004B10: D1050032 00000D32
	v_mul_f32_e64 v51, v51, s6                                 // 000000004B18: D1050033 00000D33
	v_mul_f32_e64 v52, v52, s6                                 // 000000004B20: D1050034 00000D34
	v_mul_f32_e64 v53, v53, s6                                 // 000000004B28: D1050035 00000D35
	v_exp_f32_e32 v50, v50                                     // 000000004B30: 7E644132
	v_exp_f32_e32 v51, v51                                     // 000000004B34: 7E664133
	v_exp_f32_e32 v52, v52                                     // 000000004B38: 7E684134
	v_exp_f32_e32 v53, v53                                     // 000000004B3C: 7E6A4135
	buffer_load_dwordx4 a[52:55], v43, s[12:15], 0 offen       // 000000004B40: E05C1000 8083342B
	v_add_f32_e64 v50, v50, 1.0                                // 000000004B48: D1010032 0001E532
	v_add_f32_e64 v51, v51, 1.0                                // 000000004B50: D1010033 0001E533
	v_add_f32_e64 v52, v52, 1.0                                // 000000004B58: D1010034 0001E534
	v_add_f32_e64 v53, v53, 1.0                                // 000000004B60: D1010035 0001E535
	v_rcp_f32_e32 v50, v50                                     // 000000004B68: 7E644532
	v_rcp_f32_e32 v51, v51                                     // 000000004B6C: 7E664533
	v_rcp_f32_e32 v52, v52                                     // 000000004B70: 7E684534
	v_rcp_f32_e32 v53, v53                                     // 000000004B74: 7E6A4535
	v_mul_f32_e32 v152, v152, v50                              // 000000004B78: 0B306598
	v_mul_f32_e32 v153, v153, v51                              // 000000004B7C: 0B326799
	v_mul_f32_e32 v154, v154, v52                              // 000000004B80: 0B34699A
	v_mul_f32_e32 v155, v155, v53                              // 000000004B84: 0B366B9B
	buffer_load_dwordx4 a[56:59], v44, s[12:15], 0 offen       // 000000004B88: E05C1000 8083382C
	v_mul_f32_e32 v50, v156, v156                              // 000000004B90: 0A65399C
	v_mul_f32_e32 v51, v157, v157                              // 000000004B94: 0A673B9D
	v_mul_f32_e32 v52, v158, v158                              // 000000004B98: 0A693D9E
	v_mul_f32_e32 v53, v159, v159                              // 000000004B9C: 0A6B3F9F
	v_fma_f32 v50, v50, s77, v1                                // 000000004BA0: D1CB0032 04049B32
	v_fma_f32 v51, v51, s77, v1                                // 000000004BA8: D1CB0033 04049B33
	v_fma_f32 v52, v52, s77, v1                                // 000000004BB0: D1CB0034 04049B34
	v_fma_f32 v53, v53, s77, v1                                // 000000004BB8: D1CB0035 04049B35
	v_mul_f32_e32 v50, v50, v156                               // 000000004BC0: 0A653932
	v_mul_f32_e32 v51, v51, v157                               // 000000004BC4: 0A673B33
	v_mul_f32_e32 v52, v52, v158                               // 000000004BC8: 0A693D34
	v_mul_f32_e32 v53, v53, v159                               // 000000004BCC: 0A6B3F35
	v_mul_f32_e64 v50, v50, s6                                 // 000000004BD0: D1050032 00000D32
	v_mul_f32_e64 v51, v51, s6                                 // 000000004BD8: D1050033 00000D33
	v_mul_f32_e64 v52, v52, s6                                 // 000000004BE0: D1050034 00000D34
	v_mul_f32_e64 v53, v53, s6                                 // 000000004BE8: D1050035 00000D35
	v_exp_f32_e32 v50, v50                                     // 000000004BF0: 7E644132
	v_exp_f32_e32 v51, v51                                     // 000000004BF4: 7E664133
	v_exp_f32_e32 v52, v52                                     // 000000004BF8: 7E684134
	v_exp_f32_e32 v53, v53                                     // 000000004BFC: 7E6A4135
	buffer_load_dwordx4 a[60:63], v45, s[12:15], 0 offen       // 000000004C00: E05C1000 80833C2D
	s_add_u32 s12, s78, s12                                    // 000000004C08: 800C0C4E
	s_addc_u32 s13, 0, s13                                     // 000000004C0C: 820D0D80
	v_add_f32_e64 v50, v50, 1.0                                // 000000004C10: D1010032 0001E532
	v_add_f32_e64 v51, v51, 1.0                                // 000000004C18: D1010033 0001E533
	v_add_f32_e64 v52, v52, 1.0                                // 000000004C20: D1010034 0001E534
	v_add_f32_e64 v53, v53, 1.0                                // 000000004C28: D1010035 0001E535
	v_rcp_f32_e32 v50, v50                                     // 000000004C30: 7E644532
	v_rcp_f32_e32 v51, v51                                     // 000000004C34: 7E664533
	v_rcp_f32_e32 v52, v52                                     // 000000004C38: 7E684534
	v_rcp_f32_e32 v53, v53                                     // 000000004C3C: 7E6A4535
	v_mul_f32_e32 v156, v156, v50                              // 000000004C40: 0B38659C
	v_mul_f32_e32 v157, v157, v51                              // 000000004C44: 0B3A679D
	v_mul_f32_e32 v158, v158, v52                              // 000000004C48: 0B3C699E
	v_mul_f32_e32 v159, v159, v53                              // 000000004C4C: 0B3E6B9F
	s_waitcnt vmcnt(28)                                        // 000000004C50: BF8C4F7C
	buffer_load_dwordx4 a[64:67], v42, s[12:15], 0 offen       // 000000004C54: E05C1000 8083402A
	v_mul_f32_e32 v50, v160, v160                              // 000000004C5C: 0A6541A0
	v_mul_f32_e32 v51, v161, v161                              // 000000004C60: 0A6743A1
	v_mul_f32_e32 v52, v162, v162                              // 000000004C64: 0A6945A2
	v_mul_f32_e32 v53, v163, v163                              // 000000004C68: 0A6B47A3
	v_fma_f32 v50, v50, s77, v1                                // 000000004C6C: D1CB0032 04049B32
	v_fma_f32 v51, v51, s77, v1                                // 000000004C74: D1CB0033 04049B33
	v_fma_f32 v52, v52, s77, v1                                // 000000004C7C: D1CB0034 04049B34
	v_fma_f32 v53, v53, s77, v1                                // 000000004C84: D1CB0035 04049B35
	v_mul_f32_e32 v50, v50, v160                               // 000000004C8C: 0A654132
	v_mul_f32_e32 v51, v51, v161                               // 000000004C90: 0A674333
	v_mul_f32_e32 v52, v52, v162                               // 000000004C94: 0A694534
	v_mul_f32_e32 v53, v53, v163                               // 000000004C98: 0A6B4735
	v_mul_f32_e64 v50, v50, s6                                 // 000000004C9C: D1050032 00000D32
	v_mul_f32_e64 v51, v51, s6                                 // 000000004CA4: D1050033 00000D33
	v_mul_f32_e64 v52, v52, s6                                 // 000000004CAC: D1050034 00000D34
	v_mul_f32_e64 v53, v53, s6                                 // 000000004CB4: D1050035 00000D35
	v_exp_f32_e32 v50, v50                                     // 000000004CBC: 7E644132
	v_exp_f32_e32 v51, v51                                     // 000000004CC0: 7E664133
	v_exp_f32_e32 v52, v52                                     // 000000004CC4: 7E684134
	v_exp_f32_e32 v53, v53                                     // 000000004CC8: 7E6A4135
	buffer_load_dwordx4 a[68:71], v43, s[12:15], 0 offen       // 000000004CCC: E05C1000 8083442B
	v_add_f32_e64 v50, v50, 1.0                                // 000000004CD4: D1010032 0001E532
	v_add_f32_e64 v51, v51, 1.0                                // 000000004CDC: D1010033 0001E533
	v_add_f32_e64 v52, v52, 1.0                                // 000000004CE4: D1010034 0001E534
	v_add_f32_e64 v53, v53, 1.0                                // 000000004CEC: D1010035 0001E535
	v_rcp_f32_e32 v50, v50                                     // 000000004CF4: 7E644532
	v_rcp_f32_e32 v51, v51                                     // 000000004CF8: 7E664533
	v_rcp_f32_e32 v52, v52                                     // 000000004CFC: 7E684534
	v_rcp_f32_e32 v53, v53                                     // 000000004D00: 7E6A4535
	v_mul_f32_e32 v160, v160, v50                              // 000000004D04: 0B4065A0
	v_mul_f32_e32 v161, v161, v51                              // 000000004D08: 0B4267A1
	v_mul_f32_e32 v162, v162, v52                              // 000000004D0C: 0B4469A2
	v_mul_f32_e32 v163, v163, v53                              // 000000004D10: 0B466BA3
	buffer_load_dwordx4 a[72:75], v44, s[12:15], 0 offen       // 000000004D14: E05C1000 8083482C
	v_mul_f32_e32 v50, v164, v164                              // 000000004D1C: 0A6549A4
	v_mul_f32_e32 v51, v165, v165                              // 000000004D20: 0A674BA5
	v_mul_f32_e32 v52, v166, v166                              // 000000004D24: 0A694DA6
	v_mul_f32_e32 v53, v167, v167                              // 000000004D28: 0A6B4FA7
	v_fma_f32 v50, v50, s77, v1                                // 000000004D2C: D1CB0032 04049B32
	v_fma_f32 v51, v51, s77, v1                                // 000000004D34: D1CB0033 04049B33
	v_fma_f32 v52, v52, s77, v1                                // 000000004D3C: D1CB0034 04049B34
	v_fma_f32 v53, v53, s77, v1                                // 000000004D44: D1CB0035 04049B35
	v_mul_f32_e32 v50, v50, v164                               // 000000004D4C: 0A654932
	v_mul_f32_e32 v51, v51, v165                               // 000000004D50: 0A674B33
	v_mul_f32_e32 v52, v52, v166                               // 000000004D54: 0A694D34
	v_mul_f32_e32 v53, v53, v167                               // 000000004D58: 0A6B4F35
	v_mul_f32_e64 v50, v50, s6                                 // 000000004D5C: D1050032 00000D32
	v_mul_f32_e64 v51, v51, s6                                 // 000000004D64: D1050033 00000D33
	v_mul_f32_e64 v52, v52, s6                                 // 000000004D6C: D1050034 00000D34
	v_mul_f32_e64 v53, v53, s6                                 // 000000004D74: D1050035 00000D35
	v_exp_f32_e32 v50, v50                                     // 000000004D7C: 7E644132
	v_exp_f32_e32 v51, v51                                     // 000000004D80: 7E664133
	v_exp_f32_e32 v52, v52                                     // 000000004D84: 7E684134
	v_exp_f32_e32 v53, v53                                     // 000000004D88: 7E6A4135
	buffer_load_dwordx4 a[76:79], v45, s[12:15], 0 offen       // 000000004D8C: E05C1000 80834C2D
	s_add_u32 s12, s78, s12                                    // 000000004D94: 800C0C4E
	s_addc_u32 s13, 0, s13                                     // 000000004D98: 820D0D80
	v_add_f32_e64 v50, v50, 1.0                                // 000000004D9C: D1010032 0001E532
	v_add_f32_e64 v51, v51, 1.0                                // 000000004DA4: D1010033 0001E533
	v_add_f32_e64 v52, v52, 1.0                                // 000000004DAC: D1010034 0001E534
	v_add_f32_e64 v53, v53, 1.0                                // 000000004DB4: D1010035 0001E535
	v_rcp_f32_e32 v50, v50                                     // 000000004DBC: 7E644532
	v_rcp_f32_e32 v51, v51                                     // 000000004DC0: 7E664533
	v_rcp_f32_e32 v52, v52                                     // 000000004DC4: 7E684534
	v_rcp_f32_e32 v53, v53                                     // 000000004DC8: 7E6A4535
	v_mul_f32_e32 v164, v164, v50                              // 000000004DCC: 0B4865A4
	v_mul_f32_e32 v165, v165, v51                              // 000000004DD0: 0B4A67A5
	v_mul_f32_e32 v166, v166, v52                              // 000000004DD4: 0B4C69A6
	v_mul_f32_e32 v167, v167, v53                              // 000000004DD8: 0B4E6BA7
	s_waitcnt vmcnt(28)                                        // 000000004DDC: BF8C4F7C
	buffer_load_dwordx4 a[80:83], v42, s[12:15], 0 offen       // 000000004DE0: E05C1000 8083502A
	v_mul_f32_e32 v50, v168, v168                              // 000000004DE8: 0A6551A8
	v_mul_f32_e32 v51, v169, v169                              // 000000004DEC: 0A6753A9
	v_mul_f32_e32 v52, v170, v170                              // 000000004DF0: 0A6955AA
	v_mul_f32_e32 v53, v171, v171                              // 000000004DF4: 0A6B57AB
	v_fma_f32 v50, v50, s77, v1                                // 000000004DF8: D1CB0032 04049B32
	v_fma_f32 v51, v51, s77, v1                                // 000000004E00: D1CB0033 04049B33
	v_fma_f32 v52, v52, s77, v1                                // 000000004E08: D1CB0034 04049B34
	v_fma_f32 v53, v53, s77, v1                                // 000000004E10: D1CB0035 04049B35
	v_mul_f32_e32 v50, v50, v168                               // 000000004E18: 0A655132
	v_mul_f32_e32 v51, v51, v169                               // 000000004E1C: 0A675333
	v_mul_f32_e32 v52, v52, v170                               // 000000004E20: 0A695534
	v_mul_f32_e32 v53, v53, v171                               // 000000004E24: 0A6B5735
	v_mul_f32_e64 v50, v50, s6                                 // 000000004E28: D1050032 00000D32
	v_mul_f32_e64 v51, v51, s6                                 // 000000004E30: D1050033 00000D33
	v_mul_f32_e64 v52, v52, s6                                 // 000000004E38: D1050034 00000D34
	v_mul_f32_e64 v53, v53, s6                                 // 000000004E40: D1050035 00000D35
	v_exp_f32_e32 v50, v50                                     // 000000004E48: 7E644132
	v_exp_f32_e32 v51, v51                                     // 000000004E4C: 7E664133
	v_exp_f32_e32 v52, v52                                     // 000000004E50: 7E684134
	v_exp_f32_e32 v53, v53                                     // 000000004E54: 7E6A4135
	buffer_load_dwordx4 a[84:87], v43, s[12:15], 0 offen       // 000000004E58: E05C1000 8083542B
	v_add_f32_e64 v50, v50, 1.0                                // 000000004E60: D1010032 0001E532
	v_add_f32_e64 v51, v51, 1.0                                // 000000004E68: D1010033 0001E533
	v_add_f32_e64 v52, v52, 1.0                                // 000000004E70: D1010034 0001E534
	v_add_f32_e64 v53, v53, 1.0                                // 000000004E78: D1010035 0001E535
	v_rcp_f32_e32 v50, v50                                     // 000000004E80: 7E644532
	v_rcp_f32_e32 v51, v51                                     // 000000004E84: 7E664533
	v_rcp_f32_e32 v52, v52                                     // 000000004E88: 7E684534
	v_rcp_f32_e32 v53, v53                                     // 000000004E8C: 7E6A4535
	v_mul_f32_e32 v168, v168, v50                              // 000000004E90: 0B5065A8
	v_mul_f32_e32 v169, v169, v51                              // 000000004E94: 0B5267A9
	v_mul_f32_e32 v170, v170, v52                              // 000000004E98: 0B5469AA
	v_mul_f32_e32 v171, v171, v53                              // 000000004E9C: 0B566BAB
	buffer_load_dwordx4 a[88:91], v44, s[12:15], 0 offen       // 000000004EA0: E05C1000 8083582C
	v_mul_f32_e32 v50, v172, v172                              // 000000004EA8: 0A6559AC
	v_mul_f32_e32 v51, v173, v173                              // 000000004EAC: 0A675BAD
	v_mul_f32_e32 v52, v174, v174                              // 000000004EB0: 0A695DAE
	v_mul_f32_e32 v53, v175, v175                              // 000000004EB4: 0A6B5FAF
	v_fma_f32 v50, v50, s77, v1                                // 000000004EB8: D1CB0032 04049B32
	v_fma_f32 v51, v51, s77, v1                                // 000000004EC0: D1CB0033 04049B33
	v_fma_f32 v52, v52, s77, v1                                // 000000004EC8: D1CB0034 04049B34
	v_fma_f32 v53, v53, s77, v1                                // 000000004ED0: D1CB0035 04049B35
	v_mul_f32_e32 v50, v50, v172                               // 000000004ED8: 0A655932
	v_mul_f32_e32 v51, v51, v173                               // 000000004EDC: 0A675B33
	v_mul_f32_e32 v52, v52, v174                               // 000000004EE0: 0A695D34
	v_mul_f32_e32 v53, v53, v175                               // 000000004EE4: 0A6B5F35
	v_mul_f32_e64 v50, v50, s6                                 // 000000004EE8: D1050032 00000D32
	v_mul_f32_e64 v51, v51, s6                                 // 000000004EF0: D1050033 00000D33
	v_mul_f32_e64 v52, v52, s6                                 // 000000004EF8: D1050034 00000D34
	v_mul_f32_e64 v53, v53, s6                                 // 000000004F00: D1050035 00000D35
	v_exp_f32_e32 v50, v50                                     // 000000004F08: 7E644132
	v_exp_f32_e32 v51, v51                                     // 000000004F0C: 7E664133
	v_exp_f32_e32 v52, v52                                     // 000000004F10: 7E684134
	v_exp_f32_e32 v53, v53                                     // 000000004F14: 7E6A4135
	buffer_load_dwordx4 a[92:95], v45, s[12:15], 0 offen       // 000000004F18: E05C1000 80835C2D
	s_add_u32 s12, s78, s12                                    // 000000004F20: 800C0C4E
	s_addc_u32 s13, 0, s13                                     // 000000004F24: 820D0D80
	v_add_f32_e64 v50, v50, 1.0                                // 000000004F28: D1010032 0001E532
	v_add_f32_e64 v51, v51, 1.0                                // 000000004F30: D1010033 0001E533
	v_add_f32_e64 v52, v52, 1.0                                // 000000004F38: D1010034 0001E534
	v_add_f32_e64 v53, v53, 1.0                                // 000000004F40: D1010035 0001E535
	v_rcp_f32_e32 v50, v50                                     // 000000004F48: 7E644532
	v_rcp_f32_e32 v51, v51                                     // 000000004F4C: 7E664533
	v_rcp_f32_e32 v52, v52                                     // 000000004F50: 7E684534
	v_rcp_f32_e32 v53, v53                                     // 000000004F54: 7E6A4535
	v_mul_f32_e32 v172, v172, v50                              // 000000004F58: 0B5865AC
	v_mul_f32_e32 v173, v173, v51                              // 000000004F5C: 0B5A67AD
	v_mul_f32_e32 v174, v174, v52                              // 000000004F60: 0B5C69AE
	v_mul_f32_e32 v175, v175, v53                              // 000000004F64: 0B5E6BAF
	s_waitcnt vmcnt(28)                                        // 000000004F68: BF8C4F7C
	buffer_load_dwordx4 a[96:99], v42, s[12:15], 0 offen       // 000000004F6C: E05C1000 8083602A
	v_mul_f32_e32 v50, v176, v176                              // 000000004F74: 0A6561B0
	v_mul_f32_e32 v51, v177, v177                              // 000000004F78: 0A6763B1
	v_mul_f32_e32 v52, v178, v178                              // 000000004F7C: 0A6965B2
	v_mul_f32_e32 v53, v179, v179                              // 000000004F80: 0A6B67B3
	v_fma_f32 v50, v50, s77, v1                                // 000000004F84: D1CB0032 04049B32
	v_fma_f32 v51, v51, s77, v1                                // 000000004F8C: D1CB0033 04049B33
	v_fma_f32 v52, v52, s77, v1                                // 000000004F94: D1CB0034 04049B34
	v_fma_f32 v53, v53, s77, v1                                // 000000004F9C: D1CB0035 04049B35
	v_mul_f32_e32 v50, v50, v176                               // 000000004FA4: 0A656132
	v_mul_f32_e32 v51, v51, v177                               // 000000004FA8: 0A676333
	v_mul_f32_e32 v52, v52, v178                               // 000000004FAC: 0A696534
	v_mul_f32_e32 v53, v53, v179                               // 000000004FB0: 0A6B6735
	v_mul_f32_e64 v50, v50, s6                                 // 000000004FB4: D1050032 00000D32
	v_mul_f32_e64 v51, v51, s6                                 // 000000004FBC: D1050033 00000D33
	v_mul_f32_e64 v52, v52, s6                                 // 000000004FC4: D1050034 00000D34
	v_mul_f32_e64 v53, v53, s6                                 // 000000004FCC: D1050035 00000D35
	v_exp_f32_e32 v50, v50                                     // 000000004FD4: 7E644132
	v_exp_f32_e32 v51, v51                                     // 000000004FD8: 7E664133
	v_exp_f32_e32 v52, v52                                     // 000000004FDC: 7E684134
	v_exp_f32_e32 v53, v53                                     // 000000004FE0: 7E6A4135
	buffer_load_dwordx4 a[100:103], v43, s[12:15], 0 offen     // 000000004FE4: E05C1000 8083642B
	v_add_f32_e64 v50, v50, 1.0                                // 000000004FEC: D1010032 0001E532
	v_add_f32_e64 v51, v51, 1.0                                // 000000004FF4: D1010033 0001E533
	v_add_f32_e64 v52, v52, 1.0                                // 000000004FFC: D1010034 0001E534
	v_add_f32_e64 v53, v53, 1.0                                // 000000005004: D1010035 0001E535
	v_rcp_f32_e32 v50, v50                                     // 00000000500C: 7E644532
	v_rcp_f32_e32 v51, v51                                     // 000000005010: 7E664533
	v_rcp_f32_e32 v52, v52                                     // 000000005014: 7E684534
	v_rcp_f32_e32 v53, v53                                     // 000000005018: 7E6A4535
	v_mul_f32_e32 v176, v176, v50                              // 00000000501C: 0B6065B0
	v_mul_f32_e32 v177, v177, v51                              // 000000005020: 0B6267B1
	v_mul_f32_e32 v178, v178, v52                              // 000000005024: 0B6469B2
	v_mul_f32_e32 v179, v179, v53                              // 000000005028: 0B666BB3
	buffer_load_dwordx4 a[104:107], v44, s[12:15], 0 offen     // 00000000502C: E05C1000 8083682C
	v_mul_f32_e32 v50, v180, v180                              // 000000005034: 0A6569B4
	v_mul_f32_e32 v51, v181, v181                              // 000000005038: 0A676BB5
	v_mul_f32_e32 v52, v182, v182                              // 00000000503C: 0A696DB6
	v_mul_f32_e32 v53, v183, v183                              // 000000005040: 0A6B6FB7
	v_fma_f32 v50, v50, s77, v1                                // 000000005044: D1CB0032 04049B32
	v_fma_f32 v51, v51, s77, v1                                // 00000000504C: D1CB0033 04049B33
	v_fma_f32 v52, v52, s77, v1                                // 000000005054: D1CB0034 04049B34
	v_fma_f32 v53, v53, s77, v1                                // 00000000505C: D1CB0035 04049B35
	v_mul_f32_e32 v50, v50, v180                               // 000000005064: 0A656932
	v_mul_f32_e32 v51, v51, v181                               // 000000005068: 0A676B33
	v_mul_f32_e32 v52, v52, v182                               // 00000000506C: 0A696D34
	v_mul_f32_e32 v53, v53, v183                               // 000000005070: 0A6B6F35
	v_mul_f32_e64 v50, v50, s6                                 // 000000005074: D1050032 00000D32
	v_mul_f32_e64 v51, v51, s6                                 // 00000000507C: D1050033 00000D33
	v_mul_f32_e64 v52, v52, s6                                 // 000000005084: D1050034 00000D34
	v_mul_f32_e64 v53, v53, s6                                 // 00000000508C: D1050035 00000D35
	v_exp_f32_e32 v50, v50                                     // 000000005094: 7E644132
	v_exp_f32_e32 v51, v51                                     // 000000005098: 7E664133
	v_exp_f32_e32 v52, v52                                     // 00000000509C: 7E684134
	v_exp_f32_e32 v53, v53                                     // 0000000050A0: 7E6A4135
	buffer_load_dwordx4 a[108:111], v45, s[12:15], 0 offen     // 0000000050A4: E05C1000 80836C2D
	s_add_u32 s12, s78, s12                                    // 0000000050AC: 800C0C4E
	s_addc_u32 s13, 0, s13                                     // 0000000050B0: 820D0D80
	v_add_f32_e64 v50, v50, 1.0                                // 0000000050B4: D1010032 0001E532
	v_add_f32_e64 v51, v51, 1.0                                // 0000000050BC: D1010033 0001E533
	v_add_f32_e64 v52, v52, 1.0                                // 0000000050C4: D1010034 0001E534
	v_add_f32_e64 v53, v53, 1.0                                // 0000000050CC: D1010035 0001E535
	v_rcp_f32_e32 v50, v50                                     // 0000000050D4: 7E644532
	v_rcp_f32_e32 v51, v51                                     // 0000000050D8: 7E664533
	v_rcp_f32_e32 v52, v52                                     // 0000000050DC: 7E684534
	v_rcp_f32_e32 v53, v53                                     // 0000000050E0: 7E6A4535
	v_mul_f32_e32 v180, v180, v50                              // 0000000050E4: 0B6865B4
	v_mul_f32_e32 v181, v181, v51                              // 0000000050E8: 0B6A67B5
	v_mul_f32_e32 v182, v182, v52                              // 0000000050EC: 0B6C69B6
	v_mul_f32_e32 v183, v183, v53                              // 0000000050F0: 0B6E6BB7
	s_waitcnt vmcnt(28)                                        // 0000000050F4: BF8C4F7C
	buffer_load_dwordx4 a[112:115], v42, s[12:15], 0 offen     // 0000000050F8: E05C1000 8083702A
	v_mul_f32_e32 v50, v184, v184                              // 000000005100: 0A6571B8
	v_mul_f32_e32 v51, v185, v185                              // 000000005104: 0A6773B9
	v_mul_f32_e32 v52, v186, v186                              // 000000005108: 0A6975BA
	v_mul_f32_e32 v53, v187, v187                              // 00000000510C: 0A6B77BB
	v_fma_f32 v50, v50, s77, v1                                // 000000005110: D1CB0032 04049B32
	v_fma_f32 v51, v51, s77, v1                                // 000000005118: D1CB0033 04049B33
	v_fma_f32 v52, v52, s77, v1                                // 000000005120: D1CB0034 04049B34
	v_fma_f32 v53, v53, s77, v1                                // 000000005128: D1CB0035 04049B35
	v_mul_f32_e32 v50, v50, v184                               // 000000005130: 0A657132
	v_mul_f32_e32 v51, v51, v185                               // 000000005134: 0A677333
	v_mul_f32_e32 v52, v52, v186                               // 000000005138: 0A697534
	v_mul_f32_e32 v53, v53, v187                               // 00000000513C: 0A6B7735
	v_mul_f32_e64 v50, v50, s6                                 // 000000005140: D1050032 00000D32
	v_mul_f32_e64 v51, v51, s6                                 // 000000005148: D1050033 00000D33
	v_mul_f32_e64 v52, v52, s6                                 // 000000005150: D1050034 00000D34
	v_mul_f32_e64 v53, v53, s6                                 // 000000005158: D1050035 00000D35
	v_exp_f32_e32 v50, v50                                     // 000000005160: 7E644132
	v_exp_f32_e32 v51, v51                                     // 000000005164: 7E664133
	v_exp_f32_e32 v52, v52                                     // 000000005168: 7E684134
	v_exp_f32_e32 v53, v53                                     // 00000000516C: 7E6A4135
	buffer_load_dwordx4 a[116:119], v43, s[12:15], 0 offen     // 000000005170: E05C1000 8083742B
	v_add_f32_e64 v50, v50, 1.0                                // 000000005178: D1010032 0001E532
	v_add_f32_e64 v51, v51, 1.0                                // 000000005180: D1010033 0001E533
	v_add_f32_e64 v52, v52, 1.0                                // 000000005188: D1010034 0001E534
	v_add_f32_e64 v53, v53, 1.0                                // 000000005190: D1010035 0001E535
	v_rcp_f32_e32 v50, v50                                     // 000000005198: 7E644532
	v_rcp_f32_e32 v51, v51                                     // 00000000519C: 7E664533
	v_rcp_f32_e32 v52, v52                                     // 0000000051A0: 7E684534
	v_rcp_f32_e32 v53, v53                                     // 0000000051A4: 7E6A4535
	v_mul_f32_e32 v184, v184, v50                              // 0000000051A8: 0B7065B8
	v_mul_f32_e32 v185, v185, v51                              // 0000000051AC: 0B7267B9
	v_mul_f32_e32 v186, v186, v52                              // 0000000051B0: 0B7469BA
	v_mul_f32_e32 v187, v187, v53                              // 0000000051B4: 0B766BBB
	buffer_load_dwordx4 a[120:123], v44, s[12:15], 0 offen     // 0000000051B8: E05C1000 8083782C
	v_mul_f32_e32 v50, v188, v188                              // 0000000051C0: 0A6579BC
	v_mul_f32_e32 v51, v189, v189                              // 0000000051C4: 0A677BBD
	v_mul_f32_e32 v52, v190, v190                              // 0000000051C8: 0A697DBE
	v_mul_f32_e32 v53, v191, v191                              // 0000000051CC: 0A6B7FBF
	v_fma_f32 v50, v50, s77, v1                                // 0000000051D0: D1CB0032 04049B32
	v_fma_f32 v51, v51, s77, v1                                // 0000000051D8: D1CB0033 04049B33
	v_fma_f32 v52, v52, s77, v1                                // 0000000051E0: D1CB0034 04049B34
	v_fma_f32 v53, v53, s77, v1                                // 0000000051E8: D1CB0035 04049B35
	v_mul_f32_e32 v50, v50, v188                               // 0000000051F0: 0A657932
	v_mul_f32_e32 v51, v51, v189                               // 0000000051F4: 0A677B33
	v_mul_f32_e32 v52, v52, v190                               // 0000000051F8: 0A697D34
	v_mul_f32_e32 v53, v53, v191                               // 0000000051FC: 0A6B7F35
	v_mul_f32_e64 v50, v50, s6                                 // 000000005200: D1050032 00000D32
	v_mul_f32_e64 v51, v51, s6                                 // 000000005208: D1050033 00000D33
	v_mul_f32_e64 v52, v52, s6                                 // 000000005210: D1050034 00000D34
	v_mul_f32_e64 v53, v53, s6                                 // 000000005218: D1050035 00000D35
	v_exp_f32_e32 v50, v50                                     // 000000005220: 7E644132
	v_exp_f32_e32 v51, v51                                     // 000000005224: 7E664133
	v_exp_f32_e32 v52, v52                                     // 000000005228: 7E684134
	v_exp_f32_e32 v53, v53                                     // 00000000522C: 7E6A4135
	buffer_load_dwordx4 a[124:127], v45, s[12:15], 0 offen     // 000000005230: E05C1000 80837C2D
	v_add_f32_e64 v50, v50, 1.0                                // 000000005238: D1010032 0001E532
	v_add_f32_e64 v51, v51, 1.0                                // 000000005240: D1010033 0001E533
	v_add_f32_e64 v52, v52, 1.0                                // 000000005248: D1010034 0001E534
	v_add_f32_e64 v53, v53, 1.0                                // 000000005250: D1010035 0001E535
	v_rcp_f32_e32 v50, v50                                     // 000000005258: 7E644532
	v_rcp_f32_e32 v51, v51                                     // 00000000525C: 7E664533
	v_rcp_f32_e32 v52, v52                                     // 000000005260: 7E684534
	v_rcp_f32_e32 v53, v53                                     // 000000005264: 7E6A4535
	v_mul_f32_e32 v188, v188, v50                              // 000000005268: 0B7865BC
	v_mul_f32_e32 v189, v189, v51                              // 00000000526C: 0B7A67BD
	v_mul_f32_e32 v190, v190, v52                              // 000000005270: 0B7C69BE
	v_mul_f32_e32 v191, v191, v53                              // 000000005274: 0B7E6BBF
	v_mul_f32_dpp v128, v18, v128 row_newbcast:0 row_mask:0xf bank_mask:0xf// 000000005278: 0B0100FA FF015012
	v_mul_f32_dpp v129, v18, v129 row_newbcast:1 row_mask:0xf bank_mask:0xf// 000000005280: 0B0302FA FF015112
	v_mul_f32_dpp v130, v18, v130 row_newbcast:2 row_mask:0xf bank_mask:0xf// 000000005288: 0B0504FA FF015212
	v_mul_f32_dpp v131, v18, v131 row_newbcast:3 row_mask:0xf bank_mask:0xf// 000000005290: 0B0706FA FF015312
	v_mul_f32_dpp v132, v18, v132 row_newbcast:0 row_mask:0xf bank_mask:0xf// 000000005298: 0B0908FA FF015012
	v_mul_f32_dpp v133, v18, v133 row_newbcast:1 row_mask:0xf bank_mask:0xf// 0000000052A0: 0B0B0AFA FF015112
	v_mul_f32_dpp v134, v18, v134 row_newbcast:2 row_mask:0xf bank_mask:0xf// 0000000052A8: 0B0D0CFA FF015212
	v_mul_f32_dpp v135, v18, v135 row_newbcast:3 row_mask:0xf bank_mask:0xf// 0000000052B0: 0B0F0EFA FF015312
	v_mul_f32_dpp v136, v18, v136 row_newbcast:4 row_mask:0xf bank_mask:0xf// 0000000052B8: 0B1110FA FF015412
	v_mul_f32_dpp v137, v18, v137 row_newbcast:5 row_mask:0xf bank_mask:0xf// 0000000052C0: 0B1312FA FF015512
	v_mul_f32_dpp v138, v18, v138 row_newbcast:6 row_mask:0xf bank_mask:0xf// 0000000052C8: 0B1514FA FF015612
	v_mul_f32_dpp v139, v18, v139 row_newbcast:7 row_mask:0xf bank_mask:0xf// 0000000052D0: 0B1716FA FF015712
	v_mul_f32_dpp v140, v18, v140 row_newbcast:4 row_mask:0xf bank_mask:0xf// 0000000052D8: 0B1918FA FF015412
	v_mul_f32_dpp v141, v18, v141 row_newbcast:5 row_mask:0xf bank_mask:0xf// 0000000052E0: 0B1B1AFA FF015512
	v_mul_f32_dpp v142, v18, v142 row_newbcast:6 row_mask:0xf bank_mask:0xf// 0000000052E8: 0B1D1CFA FF015612
	v_mul_f32_dpp v143, v18, v143 row_newbcast:7 row_mask:0xf bank_mask:0xf// 0000000052F0: 0B1F1EFA FF015712
	v_mul_f32_dpp v144, v18, v144 row_newbcast:8 row_mask:0xf bank_mask:0xf// 0000000052F8: 0B2120FA FF015812
	v_mul_f32_dpp v145, v18, v145 row_newbcast:9 row_mask:0xf bank_mask:0xf// 000000005300: 0B2322FA FF015912
	v_mul_f32_dpp v146, v18, v146 row_newbcast:10 row_mask:0xf bank_mask:0xf// 000000005308: 0B2524FA FF015A12
	v_mul_f32_dpp v147, v18, v147 row_newbcast:11 row_mask:0xf bank_mask:0xf// 000000005310: 0B2726FA FF015B12
	v_mul_f32_dpp v148, v18, v148 row_newbcast:8 row_mask:0xf bank_mask:0xf// 000000005318: 0B2928FA FF015812
	v_mul_f32_dpp v149, v18, v149 row_newbcast:9 row_mask:0xf bank_mask:0xf// 000000005320: 0B2B2AFA FF015912
	v_mul_f32_dpp v150, v18, v150 row_newbcast:10 row_mask:0xf bank_mask:0xf// 000000005328: 0B2D2CFA FF015A12
	v_mul_f32_dpp v151, v18, v151 row_newbcast:11 row_mask:0xf bank_mask:0xf// 000000005330: 0B2F2EFA FF015B12
	v_mul_f32_dpp v152, v18, v152 row_newbcast:12 row_mask:0xf bank_mask:0xf// 000000005338: 0B3130FA FF015C12
	v_mul_f32_dpp v153, v18, v153 row_newbcast:13 row_mask:0xf bank_mask:0xf// 000000005340: 0B3332FA FF015D12
	v_mul_f32_dpp v154, v18, v154 row_newbcast:14 row_mask:0xf bank_mask:0xf// 000000005348: 0B3534FA FF015E12
	v_mul_f32_dpp v155, v18, v155 row_newbcast:15 row_mask:0xf bank_mask:0xf// 000000005350: 0B3736FA FF015F12
	v_mul_f32_dpp v156, v18, v156 row_newbcast:12 row_mask:0xf bank_mask:0xf// 000000005358: 0B3938FA FF015C12
	v_mul_f32_dpp v157, v18, v157 row_newbcast:13 row_mask:0xf bank_mask:0xf// 000000005360: 0B3B3AFA FF015D12
	v_mul_f32_dpp v158, v18, v158 row_newbcast:14 row_mask:0xf bank_mask:0xf// 000000005368: 0B3D3CFA FF015E12
	v_mul_f32_dpp v159, v18, v159 row_newbcast:15 row_mask:0xf bank_mask:0xf// 000000005370: 0B3F3EFA FF015F12
	v_mul_f32_dpp v160, v19, v160 row_newbcast:0 row_mask:0xf bank_mask:0xf// 000000005378: 0B4140FA FF015013
	v_mul_f32_dpp v161, v19, v161 row_newbcast:1 row_mask:0xf bank_mask:0xf// 000000005380: 0B4342FA FF015113
	v_mul_f32_dpp v162, v19, v162 row_newbcast:2 row_mask:0xf bank_mask:0xf// 000000005388: 0B4544FA FF015213
	v_mul_f32_dpp v163, v19, v163 row_newbcast:3 row_mask:0xf bank_mask:0xf// 000000005390: 0B4746FA FF015313
	v_mul_f32_dpp v164, v19, v164 row_newbcast:0 row_mask:0xf bank_mask:0xf// 000000005398: 0B4948FA FF015013
	v_mul_f32_dpp v165, v19, v165 row_newbcast:1 row_mask:0xf bank_mask:0xf// 0000000053A0: 0B4B4AFA FF015113
	v_mul_f32_dpp v166, v19, v166 row_newbcast:2 row_mask:0xf bank_mask:0xf// 0000000053A8: 0B4D4CFA FF015213
	v_mul_f32_dpp v167, v19, v167 row_newbcast:3 row_mask:0xf bank_mask:0xf// 0000000053B0: 0B4F4EFA FF015313
	v_mul_f32_dpp v168, v19, v168 row_newbcast:4 row_mask:0xf bank_mask:0xf// 0000000053B8: 0B5150FA FF015413
	v_mul_f32_dpp v169, v19, v169 row_newbcast:5 row_mask:0xf bank_mask:0xf// 0000000053C0: 0B5352FA FF015513
	v_mul_f32_dpp v170, v19, v170 row_newbcast:6 row_mask:0xf bank_mask:0xf// 0000000053C8: 0B5554FA FF015613
	v_mul_f32_dpp v171, v19, v171 row_newbcast:7 row_mask:0xf bank_mask:0xf// 0000000053D0: 0B5756FA FF015713
	v_mul_f32_dpp v172, v19, v172 row_newbcast:4 row_mask:0xf bank_mask:0xf// 0000000053D8: 0B5958FA FF015413
	v_mul_f32_dpp v173, v19, v173 row_newbcast:5 row_mask:0xf bank_mask:0xf// 0000000053E0: 0B5B5AFA FF015513
	v_mul_f32_dpp v174, v19, v174 row_newbcast:6 row_mask:0xf bank_mask:0xf// 0000000053E8: 0B5D5CFA FF015613
	v_mul_f32_dpp v175, v19, v175 row_newbcast:7 row_mask:0xf bank_mask:0xf// 0000000053F0: 0B5F5EFA FF015713
	v_mul_f32_dpp v176, v19, v176 row_newbcast:8 row_mask:0xf bank_mask:0xf// 0000000053F8: 0B6160FA FF015813
	v_mul_f32_dpp v177, v19, v177 row_newbcast:9 row_mask:0xf bank_mask:0xf// 000000005400: 0B6362FA FF015913
	v_mul_f32_dpp v178, v19, v178 row_newbcast:10 row_mask:0xf bank_mask:0xf// 000000005408: 0B6564FA FF015A13
	v_mul_f32_dpp v179, v19, v179 row_newbcast:11 row_mask:0xf bank_mask:0xf// 000000005410: 0B6766FA FF015B13
	v_mul_f32_dpp v180, v19, v180 row_newbcast:8 row_mask:0xf bank_mask:0xf// 000000005418: 0B6968FA FF015813
	v_mul_f32_dpp v181, v19, v181 row_newbcast:9 row_mask:0xf bank_mask:0xf// 000000005420: 0B6B6AFA FF015913
	v_mul_f32_dpp v182, v19, v182 row_newbcast:10 row_mask:0xf bank_mask:0xf// 000000005428: 0B6D6CFA FF015A13
	v_mul_f32_dpp v183, v19, v183 row_newbcast:11 row_mask:0xf bank_mask:0xf// 000000005430: 0B6F6EFA FF015B13
	v_mul_f32_dpp v184, v19, v184 row_newbcast:12 row_mask:0xf bank_mask:0xf// 000000005438: 0B7170FA FF015C13
	v_mul_f32_dpp v185, v19, v185 row_newbcast:13 row_mask:0xf bank_mask:0xf// 000000005440: 0B7372FA FF015D13
	v_mul_f32_dpp v186, v19, v186 row_newbcast:14 row_mask:0xf bank_mask:0xf// 000000005448: 0B7574FA FF015E13
	v_mul_f32_dpp v187, v19, v187 row_newbcast:15 row_mask:0xf bank_mask:0xf// 000000005450: 0B7776FA FF015F13
	v_mul_f32_dpp v188, v19, v188 row_newbcast:12 row_mask:0xf bank_mask:0xf// 000000005458: 0B7978FA FF015C13
	v_mul_f32_dpp v189, v19, v189 row_newbcast:13 row_mask:0xf bank_mask:0xf// 000000005460: 0B7B7AFA FF015D13
	v_mul_f32_dpp v190, v19, v190 row_newbcast:14 row_mask:0xf bank_mask:0xf// 000000005468: 0B7D7CFA FF015E13
	v_mul_f32_dpp v191, v19, v191 row_newbcast:15 row_mask:0xf bank_mask:0xf// 000000005470: 0B7F7EFA FF015F13
	buffer_load_dword v12, v5, s[16:19], 0 offen               // 000000005478: E0501000 80040C05
	v_mov_b32_e32 v22, 0x358637bd                              // 000000005480: 7E2C02FF 358637BD
	v_mov_b32_e32 v23, 0x358637bd                              // 000000005488: 7E2E02FF 358637BD
	v_max3_f32 v22, |v128|, |v129|, v22                        // 000000005490: D1D30316 045B0380
	v_max3_f32 v22, |v130|, |v131|, v22                        // 000000005498: D1D30316 045B0782
	v_max3_f32 v23, |v132|, |v133|, v23                        // 0000000054A0: D1D30317 045F0B84
	v_max3_f32 v23, |v134|, |v135|, v23                        // 0000000054A8: D1D30317 045F0F86
	v_max3_f32 v22, |v136|, |v137|, v22                        // 0000000054B0: D1D30316 045B1388
	v_max3_f32 v22, |v138|, |v139|, v22                        // 0000000054B8: D1D30316 045B178A
	v_max3_f32 v23, |v140|, |v141|, v23                        // 0000000054C0: D1D30317 045F1B8C
	v_max3_f32 v23, |v142|, |v143|, v23                        // 0000000054C8: D1D30317 045F1F8E
	v_max3_f32 v22, |v144|, |v145|, v22                        // 0000000054D0: D1D30316 045B2390
	v_max3_f32 v22, |v146|, |v147|, v22                        // 0000000054D8: D1D30316 045B2792
	v_max3_f32 v23, |v148|, |v149|, v23                        // 0000000054E0: D1D30317 045F2B94
	v_max3_f32 v23, |v150|, |v151|, v23                        // 0000000054E8: D1D30317 045F2F96
	v_max3_f32 v22, |v152|, |v153|, v22                        // 0000000054F0: D1D30316 045B3398
	v_max3_f32 v22, |v154|, |v155|, v22                        // 0000000054F8: D1D30316 045B379A
	v_max3_f32 v23, |v156|, |v157|, v23                        // 000000005500: D1D30317 045F3B9C
	v_max3_f32 v23, |v158|, |v159|, v23                        // 000000005508: D1D30317 045F3F9E
	v_max3_f32 v22, |v160|, |v161|, v22                        // 000000005510: D1D30316 045B43A0
	v_max3_f32 v22, |v162|, |v163|, v22                        // 000000005518: D1D30316 045B47A2
	v_max3_f32 v23, |v164|, |v165|, v23                        // 000000005520: D1D30317 045F4BA4
	v_max3_f32 v23, |v166|, |v167|, v23                        // 000000005528: D1D30317 045F4FA6
	v_max3_f32 v22, |v168|, |v169|, v22                        // 000000005530: D1D30316 045B53A8
	v_max3_f32 v22, |v170|, |v171|, v22                        // 000000005538: D1D30316 045B57AA
	v_max3_f32 v23, |v172|, |v173|, v23                        // 000000005540: D1D30317 045F5BAC
	v_max3_f32 v23, |v174|, |v175|, v23                        // 000000005548: D1D30317 045F5FAE
	v_max3_f32 v22, |v176|, |v177|, v22                        // 000000005550: D1D30316 045B63B0
	v_max3_f32 v22, |v178|, |v179|, v22                        // 000000005558: D1D30316 045B67B2
	v_max3_f32 v23, |v180|, |v181|, v23                        // 000000005560: D1D30317 045F6BB4
	v_max3_f32 v23, |v182|, |v183|, v23                        // 000000005568: D1D30317 045F6FB6
	v_max3_f32 v22, |v184|, |v185|, v22                        // 000000005570: D1D30316 045B73B8
	v_max3_f32 v22, |v186|, |v187|, v22                        // 000000005578: D1D30316 045B77BA
	v_max3_f32 v23, |v188|, |v189|, v23                        // 000000005580: D1D30317 045F7BBC
	v_max3_f32 v23, |v190|, |v191|, v23                        // 000000005588: D1D30317 045F7FBE
	v_lshlrev_b32_e32 v50, 3, v0                               // 000000005590: 24640083
	s_mul_i32 s60, 0x200, s7                                   // 000000005594: 923C07FF 00000200
	v_add_u32_e32 v50, s60, v50                                // 00000000559C: 6864643C
	ds_write_b64 v50, v[22:23] offset:16640                    // 0000000055A0: D89A4100 00001632
	s_waitcnt lgkmcnt(0)                                       // 0000000055A8: BF8CC07F
	s_barrier                                                  // 0000000055AC: BF8A0000
	v_and_b32_e32 v50, 15, v0                                  // 0000000055B0: 2664008F
	v_lshlrev_b32_e32 v50, 3, v50                              // 0000000055B4: 24646483
	ds_read_b64 v[96:97], v50 offset:16640                     // 0000000055B8: D8EC4100 60000032
	ds_read_b64 v[98:99], v50 offset:16768                     // 0000000055C0: D8EC4180 62000032
	ds_read_b64 v[100:101], v50 offset:16896                   // 0000000055C8: D8EC4200 64000032
	ds_read_b64 v[102:103], v50 offset:17024                   // 0000000055D0: D8EC4280 66000032
	ds_read_b64 v[104:105], v50 offset:17152                   // 0000000055D8: D8EC4300 68000032
	ds_read_b64 v[106:107], v50 offset:17280                   // 0000000055E0: D8EC4380 6A000032
	ds_read_b64 v[108:109], v50 offset:17408                   // 0000000055E8: D8EC4400 6C000032
	ds_read_b64 v[110:111], v50 offset:17536                   // 0000000055F0: D8EC4480 6E000032
	ds_read_b64 v[112:113], v50 offset:17664                   // 0000000055F8: D8EC4500 70000032
	ds_read_b64 v[114:115], v50 offset:17792                   // 000000005600: D8EC4580 72000032
	ds_read_b64 v[116:117], v50 offset:17920                   // 000000005608: D8EC4600 74000032
	ds_read_b64 v[118:119], v50 offset:18048                   // 000000005610: D8EC4680 76000032
	ds_read_b64 v[120:121], v50 offset:18176                   // 000000005618: D8EC4700 78000032
	ds_read_b64 v[122:123], v50 offset:18304                   // 000000005620: D8EC4780 7A000032
	ds_read_b64 v[124:125], v50 offset:18432                   // 000000005628: D8EC4800 7C000032
	ds_read_b64 v[126:127], v50 offset:18560                   // 000000005630: D8EC4880 7E000032
	s_waitcnt lgkmcnt(0)                                       // 000000005638: BF8CC07F
	v_max3_f32 v22, |v96|, |v98|, v22                          // 00000000563C: D1D30316 045AC560
	v_max3_f32 v23, |v97|, |v99|, v23                          // 000000005644: D1D30317 045EC761
	v_max3_f32 v22, |v100|, |v102|, v22                        // 00000000564C: D1D30316 045ACD64
	v_max3_f32 v23, |v101|, |v103|, v23                        // 000000005654: D1D30317 045ECF65
	v_max3_f32 v22, |v104|, |v106|, v22                        // 00000000565C: D1D30316 045AD568
	v_max3_f32 v23, |v105|, |v107|, v23                        // 000000005664: D1D30317 045ED769
	v_max3_f32 v22, |v108|, |v110|, v22                        // 00000000566C: D1D30316 045ADD6C
	v_max3_f32 v23, |v109|, |v111|, v23                        // 000000005674: D1D30317 045EDF6D
	v_max3_f32 v22, |v112|, |v114|, v22                        // 00000000567C: D1D30316 045AE570
	v_max3_f32 v23, |v113|, |v115|, v23                        // 000000005684: D1D30317 045EE771
	v_max3_f32 v22, |v116|, |v118|, v22                        // 00000000568C: D1D30316 045AED74
	v_max3_f32 v23, |v117|, |v119|, v23                        // 000000005694: D1D30317 045EEF75
	v_max3_f32 v22, |v120|, |v122|, v22                        // 00000000569C: D1D30316 045AF578
	v_max3_f32 v23, |v121|, |v123|, v23                        // 0000000056A4: D1D30317 045EF779
	v_max3_f32 v22, |v124|, |v126|, v22                        // 0000000056AC: D1D30316 045AFD7C
	v_max3_f32 v23, |v125|, |v127|, v23                        // 0000000056B4: D1D30317 045EFF7D
	v_rcp_f32_e32 v22, v22                                     // 0000000056BC: 7E2C4516
	v_rcp_f32_e32 v23, v23                                     // 0000000056C0: 7E2E4517
	v_mul_f32_e32 v22, 0x42fe0000, v22                         // 0000000056C4: 0A2C2CFF 42FE0000
	v_mul_f32_e32 v23, 0x42fe0000, v23                         // 0000000056CC: 0A2E2EFF 42FE0000
	v_mul_f32_e32 v128, v22, v128                              // 0000000056D4: 0B010116
	v_mul_f32_e32 v129, v22, v129                              // 0000000056D8: 0B030316
	v_mul_f32_e32 v130, v22, v130                              // 0000000056DC: 0B050516
	v_mul_f32_e32 v131, v22, v131                              // 0000000056E0: 0B070716
	v_cvt_i32_f32_e32 v128, v128                               // 0000000056E4: 7F001180
	v_cvt_i32_f32_e32 v129, v129                               // 0000000056E8: 7F021181
	v_cvt_i32_f32_e32 v130, v130                               // 0000000056EC: 7F041182
	v_cvt_i32_f32_e32 v131, v131                               // 0000000056F0: 7F061183
	v_perm_b32 v128, v129, v128, s53                           // 0000000056F4: D1ED0080 00D70181
	v_perm_b32 v128, v130, v128, s54                           // 0000000056FC: D1ED0080 00DB0182
	v_perm_b32 v128, v131, v128, s55                           // 000000005704: D1ED0080 00DF0183
	v_mul_f32_e32 v132, v23, v132                              // 00000000570C: 0B090917
	v_mul_f32_e32 v133, v23, v133                              // 000000005710: 0B0B0B17
	v_mul_f32_e32 v134, v23, v134                              // 000000005714: 0B0D0D17
	v_mul_f32_e32 v135, v23, v135                              // 000000005718: 0B0F0F17
	v_cvt_i32_f32_e32 v132, v132                               // 00000000571C: 7F081184
	v_cvt_i32_f32_e32 v133, v133                               // 000000005720: 7F0A1185
	v_cvt_i32_f32_e32 v134, v134                               // 000000005724: 7F0C1186
	v_cvt_i32_f32_e32 v135, v135                               // 000000005728: 7F0E1187
	v_perm_b32 v129, v133, v132, s53                           // 00000000572C: D1ED0081 00D70985
	v_perm_b32 v129, v134, v129, s54                           // 000000005734: D1ED0081 00DB0386
	v_perm_b32 v129, v135, v129, s55                           // 00000000573C: D1ED0081 00DF0387
	v_mul_f32_e32 v136, v22, v136                              // 000000005744: 0B111116
	v_mul_f32_e32 v137, v22, v137                              // 000000005748: 0B131316
	v_mul_f32_e32 v138, v22, v138                              // 00000000574C: 0B151516
	v_mul_f32_e32 v139, v22, v139                              // 000000005750: 0B171716
	v_cvt_i32_f32_e32 v136, v136                               // 000000005754: 7F101188
	v_cvt_i32_f32_e32 v137, v137                               // 000000005758: 7F121189
	v_cvt_i32_f32_e32 v138, v138                               // 00000000575C: 7F14118A
	v_cvt_i32_f32_e32 v139, v139                               // 000000005760: 7F16118B
	v_perm_b32 v130, v137, v136, s53                           // 000000005764: D1ED0082 00D71189
	v_perm_b32 v130, v138, v130, s54                           // 00000000576C: D1ED0082 00DB058A
	v_perm_b32 v130, v139, v130, s55                           // 000000005774: D1ED0082 00DF058B
	v_mul_f32_e32 v140, v23, v140                              // 00000000577C: 0B191917
	v_mul_f32_e32 v141, v23, v141                              // 000000005780: 0B1B1B17
	v_mul_f32_e32 v142, v23, v142                              // 000000005784: 0B1D1D17
	v_mul_f32_e32 v143, v23, v143                              // 000000005788: 0B1F1F17
	v_cvt_i32_f32_e32 v140, v140                               // 00000000578C: 7F18118C
	v_cvt_i32_f32_e32 v141, v141                               // 000000005790: 7F1A118D
	v_cvt_i32_f32_e32 v142, v142                               // 000000005794: 7F1C118E
	v_cvt_i32_f32_e32 v143, v143                               // 000000005798: 7F1E118F
	v_perm_b32 v131, v141, v140, s53                           // 00000000579C: D1ED0083 00D7198D
	v_perm_b32 v131, v142, v131, s54                           // 0000000057A4: D1ED0083 00DB078E
	v_perm_b32 v131, v143, v131, s55                           // 0000000057AC: D1ED0083 00DF078F
	v_mul_f32_e32 v144, v22, v144                              // 0000000057B4: 0B212116
	v_mul_f32_e32 v145, v22, v145                              // 0000000057B8: 0B232316
	v_mul_f32_e32 v146, v22, v146                              // 0000000057BC: 0B252516
	v_mul_f32_e32 v147, v22, v147                              // 0000000057C0: 0B272716
	v_cvt_i32_f32_e32 v144, v144                               // 0000000057C4: 7F201190
	v_cvt_i32_f32_e32 v145, v145                               // 0000000057C8: 7F221191
	v_cvt_i32_f32_e32 v146, v146                               // 0000000057CC: 7F241192
	v_cvt_i32_f32_e32 v147, v147                               // 0000000057D0: 7F261193
	v_perm_b32 v132, v145, v144, s53                           // 0000000057D4: D1ED0084 00D72191
	v_perm_b32 v132, v146, v132, s54                           // 0000000057DC: D1ED0084 00DB0992
	v_perm_b32 v132, v147, v132, s55                           // 0000000057E4: D1ED0084 00DF0993
	v_mul_f32_e32 v148, v23, v148                              // 0000000057EC: 0B292917
	v_mul_f32_e32 v149, v23, v149                              // 0000000057F0: 0B2B2B17
	v_mul_f32_e32 v150, v23, v150                              // 0000000057F4: 0B2D2D17
	v_mul_f32_e32 v151, v23, v151                              // 0000000057F8: 0B2F2F17
	v_cvt_i32_f32_e32 v148, v148                               // 0000000057FC: 7F281194
	v_cvt_i32_f32_e32 v149, v149                               // 000000005800: 7F2A1195
	v_cvt_i32_f32_e32 v150, v150                               // 000000005804: 7F2C1196
	v_cvt_i32_f32_e32 v151, v151                               // 000000005808: 7F2E1197
	v_perm_b32 v133, v149, v148, s53                           // 00000000580C: D1ED0085 00D72995
	v_perm_b32 v133, v150, v133, s54                           // 000000005814: D1ED0085 00DB0B96
	v_perm_b32 v133, v151, v133, s55                           // 00000000581C: D1ED0085 00DF0B97
	v_mul_f32_e32 v152, v22, v152                              // 000000005824: 0B313116
	v_mul_f32_e32 v153, v22, v153                              // 000000005828: 0B333316
	v_mul_f32_e32 v154, v22, v154                              // 00000000582C: 0B353516
	v_mul_f32_e32 v155, v22, v155                              // 000000005830: 0B373716
	v_cvt_i32_f32_e32 v152, v152                               // 000000005834: 7F301198
	v_cvt_i32_f32_e32 v153, v153                               // 000000005838: 7F321199
	v_cvt_i32_f32_e32 v154, v154                               // 00000000583C: 7F34119A
	v_cvt_i32_f32_e32 v155, v155                               // 000000005840: 7F36119B
	v_perm_b32 v134, v153, v152, s53                           // 000000005844: D1ED0086 00D73199
	v_perm_b32 v134, v154, v134, s54                           // 00000000584C: D1ED0086 00DB0D9A
	v_perm_b32 v134, v155, v134, s55                           // 000000005854: D1ED0086 00DF0D9B
	v_mul_f32_e32 v156, v23, v156                              // 00000000585C: 0B393917
	v_mul_f32_e32 v157, v23, v157                              // 000000005860: 0B3B3B17
	v_mul_f32_e32 v158, v23, v158                              // 000000005864: 0B3D3D17
	v_mul_f32_e32 v159, v23, v159                              // 000000005868: 0B3F3F17
	v_cvt_i32_f32_e32 v156, v156                               // 00000000586C: 7F38119C
	v_cvt_i32_f32_e32 v157, v157                               // 000000005870: 7F3A119D
	v_cvt_i32_f32_e32 v158, v158                               // 000000005874: 7F3C119E
	v_cvt_i32_f32_e32 v159, v159                               // 000000005878: 7F3E119F
	v_perm_b32 v135, v157, v156, s53                           // 00000000587C: D1ED0087 00D7399D
	v_perm_b32 v135, v158, v135, s54                           // 000000005884: D1ED0087 00DB0F9E
	v_perm_b32 v135, v159, v135, s55                           // 00000000588C: D1ED0087 00DF0F9F
	v_mul_f32_e32 v160, v22, v160                              // 000000005894: 0B414116
	v_mul_f32_e32 v161, v22, v161                              // 000000005898: 0B434316
	v_mul_f32_e32 v162, v22, v162                              // 00000000589C: 0B454516
	v_mul_f32_e32 v163, v22, v163                              // 0000000058A0: 0B474716
	v_cvt_i32_f32_e32 v160, v160                               // 0000000058A4: 7F4011A0
	v_cvt_i32_f32_e32 v161, v161                               // 0000000058A8: 7F4211A1
	v_cvt_i32_f32_e32 v162, v162                               // 0000000058AC: 7F4411A2
	v_cvt_i32_f32_e32 v163, v163                               // 0000000058B0: 7F4611A3
	v_perm_b32 v136, v161, v160, s53                           // 0000000058B4: D1ED0088 00D741A1
	v_perm_b32 v136, v162, v136, s54                           // 0000000058BC: D1ED0088 00DB11A2
	v_perm_b32 v136, v163, v136, s55                           // 0000000058C4: D1ED0088 00DF11A3
	v_mul_f32_e32 v164, v23, v164                              // 0000000058CC: 0B494917
	v_mul_f32_e32 v165, v23, v165                              // 0000000058D0: 0B4B4B17
	v_mul_f32_e32 v166, v23, v166                              // 0000000058D4: 0B4D4D17
	v_mul_f32_e32 v167, v23, v167                              // 0000000058D8: 0B4F4F17
	v_cvt_i32_f32_e32 v164, v164                               // 0000000058DC: 7F4811A4
	v_cvt_i32_f32_e32 v165, v165                               // 0000000058E0: 7F4A11A5
	v_cvt_i32_f32_e32 v166, v166                               // 0000000058E4: 7F4C11A6
	v_cvt_i32_f32_e32 v167, v167                               // 0000000058E8: 7F4E11A7
	v_perm_b32 v137, v165, v164, s53                           // 0000000058EC: D1ED0089 00D749A5
	v_perm_b32 v137, v166, v137, s54                           // 0000000058F4: D1ED0089 00DB13A6
	v_perm_b32 v137, v167, v137, s55                           // 0000000058FC: D1ED0089 00DF13A7
	v_mul_f32_e32 v168, v22, v168                              // 000000005904: 0B515116
	v_mul_f32_e32 v169, v22, v169                              // 000000005908: 0B535316
	v_mul_f32_e32 v170, v22, v170                              // 00000000590C: 0B555516
	v_mul_f32_e32 v171, v22, v171                              // 000000005910: 0B575716
	v_cvt_i32_f32_e32 v168, v168                               // 000000005914: 7F5011A8
	v_cvt_i32_f32_e32 v169, v169                               // 000000005918: 7F5211A9
	v_cvt_i32_f32_e32 v170, v170                               // 00000000591C: 7F5411AA
	v_cvt_i32_f32_e32 v171, v171                               // 000000005920: 7F5611AB
	v_perm_b32 v138, v169, v168, s53                           // 000000005924: D1ED008A 00D751A9
	v_perm_b32 v138, v170, v138, s54                           // 00000000592C: D1ED008A 00DB15AA
	v_perm_b32 v138, v171, v138, s55                           // 000000005934: D1ED008A 00DF15AB
	v_mul_f32_e32 v172, v23, v172                              // 00000000593C: 0B595917
	v_mul_f32_e32 v173, v23, v173                              // 000000005940: 0B5B5B17
	v_mul_f32_e32 v174, v23, v174                              // 000000005944: 0B5D5D17
	v_mul_f32_e32 v175, v23, v175                              // 000000005948: 0B5F5F17
	v_cvt_i32_f32_e32 v172, v172                               // 00000000594C: 7F5811AC
	v_cvt_i32_f32_e32 v173, v173                               // 000000005950: 7F5A11AD
	v_cvt_i32_f32_e32 v174, v174                               // 000000005954: 7F5C11AE
	v_cvt_i32_f32_e32 v175, v175                               // 000000005958: 7F5E11AF
	v_perm_b32 v139, v173, v172, s53                           // 00000000595C: D1ED008B 00D759AD
	v_perm_b32 v139, v174, v139, s54                           // 000000005964: D1ED008B 00DB17AE
	v_perm_b32 v139, v175, v139, s55                           // 00000000596C: D1ED008B 00DF17AF
	v_mul_f32_e32 v176, v22, v176                              // 000000005974: 0B616116
	v_mul_f32_e32 v177, v22, v177                              // 000000005978: 0B636316
	v_mul_f32_e32 v178, v22, v178                              // 00000000597C: 0B656516
	v_mul_f32_e32 v179, v22, v179                              // 000000005980: 0B676716
	v_cvt_i32_f32_e32 v176, v176                               // 000000005984: 7F6011B0
	v_cvt_i32_f32_e32 v177, v177                               // 000000005988: 7F6211B1
	v_cvt_i32_f32_e32 v178, v178                               // 00000000598C: 7F6411B2
	v_cvt_i32_f32_e32 v179, v179                               // 000000005990: 7F6611B3
	v_perm_b32 v140, v177, v176, s53                           // 000000005994: D1ED008C 00D761B1
	v_perm_b32 v140, v178, v140, s54                           // 00000000599C: D1ED008C 00DB19B2
	v_perm_b32 v140, v179, v140, s55                           // 0000000059A4: D1ED008C 00DF19B3
	v_mul_f32_e32 v180, v23, v180                              // 0000000059AC: 0B696917
	v_mul_f32_e32 v181, v23, v181                              // 0000000059B0: 0B6B6B17
	v_mul_f32_e32 v182, v23, v182                              // 0000000059B4: 0B6D6D17
	v_mul_f32_e32 v183, v23, v183                              // 0000000059B8: 0B6F6F17
	v_cvt_i32_f32_e32 v180, v180                               // 0000000059BC: 7F6811B4
	v_cvt_i32_f32_e32 v181, v181                               // 0000000059C0: 7F6A11B5
	v_cvt_i32_f32_e32 v182, v182                               // 0000000059C4: 7F6C11B6
	v_cvt_i32_f32_e32 v183, v183                               // 0000000059C8: 7F6E11B7
	v_perm_b32 v141, v181, v180, s53                           // 0000000059CC: D1ED008D 00D769B5
	v_perm_b32 v141, v182, v141, s54                           // 0000000059D4: D1ED008D 00DB1BB6
	v_perm_b32 v141, v183, v141, s55                           // 0000000059DC: D1ED008D 00DF1BB7
	v_mul_f32_e32 v184, v22, v184                              // 0000000059E4: 0B717116
	v_mul_f32_e32 v185, v22, v185                              // 0000000059E8: 0B737316
	v_mul_f32_e32 v186, v22, v186                              // 0000000059EC: 0B757516
	v_mul_f32_e32 v187, v22, v187                              // 0000000059F0: 0B777716
	v_cvt_i32_f32_e32 v184, v184                               // 0000000059F4: 7F7011B8
	v_cvt_i32_f32_e32 v185, v185                               // 0000000059F8: 7F7211B9
	v_cvt_i32_f32_e32 v186, v186                               // 0000000059FC: 7F7411BA
	v_cvt_i32_f32_e32 v187, v187                               // 000000005A00: 7F7611BB
	v_perm_b32 v142, v185, v184, s53                           // 000000005A04: D1ED008E 00D771B9
	v_perm_b32 v142, v186, v142, s54                           // 000000005A0C: D1ED008E 00DB1DBA
	v_perm_b32 v142, v187, v142, s55                           // 000000005A14: D1ED008E 00DF1DBB
	v_mul_f32_e32 v188, v23, v188                              // 000000005A1C: 0B797917
	v_mul_f32_e32 v189, v23, v189                              // 000000005A20: 0B7B7B17
	v_mul_f32_e32 v190, v23, v190                              // 000000005A24: 0B7D7D17
	v_mul_f32_e32 v191, v23, v191                              // 000000005A28: 0B7F7F17
	v_cvt_i32_f32_e32 v188, v188                               // 000000005A2C: 7F7811BC
	v_cvt_i32_f32_e32 v189, v189                               // 000000005A30: 7F7A11BD
	v_cvt_i32_f32_e32 v190, v190                               // 000000005A34: 7F7C11BE
	v_cvt_i32_f32_e32 v191, v191                               // 000000005A38: 7F7E11BF
	v_perm_b32 v143, v189, v188, s53                           // 000000005A3C: D1ED008F 00D779BD
	v_perm_b32 v143, v190, v143, s54                           // 000000005A44: D1ED008F 00DB1FBE
	v_perm_b32 v143, v191, v143, s55                           // 000000005A4C: D1ED008F 00DF1FBF
	v_rcp_f32_e32 v24, v22                                     // 000000005A54: 7E304516
	v_rcp_f32_e32 v25, v23                                     // 000000005A58: 7E324517
	v_lshrrev_b32_e32 v50, 5, v0                               // 000000005A5C: 20640085
	v_lshlrev_b32_e32 v51, 5, v50                              // 000000005A60: 24666485
	v_and_b32_e32 v50, 31, v0                                  // 000000005A64: 2664009F
	v_lshrrev_b32_e32 v52, 4, v50                              // 000000005A68: 20686484
	v_add_u32_e32 v51, v52, v51                                // 000000005A6C: 68666734
	v_and_b32_e32 v50, 15, v0                                  // 000000005A70: 2664008F
	v_lshlrev_b32_e32 v50, 1, v50                              // 000000005A74: 24646481
	v_add_u32_e32 v51, v50, v51                                // 000000005A78: 68666732
	v_lshlrev_b32_e32 v50, 2, v51                              // 000000005A7C: 24646682
	s_mul_i32 s60, 0x100, s7                                   // 000000005A80: 923C07FF 00000100
	v_add_u32_e64 v50, v50, s60                                // 000000005A88: D1340032 00007932
	ds_write_b32 v50, v128 offset:18688                        // 000000005A90: D81A4900 00008032
	ds_write_b32 v50, v129 offset:26880                        // 000000005A98: D81A6900 00008132
	ds_write_b32 v50, v130 offset:19712                        // 000000005AA0: D81A4D00 00008232
	ds_write_b32 v50, v131 offset:27904                        // 000000005AA8: D81A6D00 00008332
	ds_write_b32 v50, v132 offset:20736                        // 000000005AB0: D81A5100 00008432
	ds_write_b32 v50, v133 offset:28928                        // 000000005AB8: D81A7100 00008532
	ds_write_b32 v50, v134 offset:21760                        // 000000005AC0: D81A5500 00008632
	ds_write_b32 v50, v135 offset:29952                        // 000000005AC8: D81A7500 00008732
	ds_write_b32 v50, v136 offset:22784                        // 000000005AD0: D81A5900 00008832
	ds_write_b32 v50, v137 offset:30976                        // 000000005AD8: D81A7900 00008932
	ds_write_b32 v50, v138 offset:23808                        // 000000005AE0: D81A5D00 00008A32
	ds_write_b32 v50, v139 offset:32000                        // 000000005AE8: D81A7D00 00008B32
	ds_write_b32 v50, v140 offset:24832                        // 000000005AF0: D81A6100 00008C32
	ds_write_b32 v50, v141 offset:33024                        // 000000005AF8: D81A8100 00008D32
	ds_write_b32 v50, v142 offset:25856                        // 000000005B00: D81A6500 00008E32
	ds_write_b32 v50, v143 offset:34048                        // 000000005B08: D81A8500 00008F32
	s_waitcnt lgkmcnt(0)                                       // 000000005B10: BF8CC07F
	s_barrier                                                  // 000000005B14: BF8A0000
	v_lshrrev_b32_e32 v50, 4, v0                               // 000000005B18: 20640084
	v_lshlrev_b32_e32 v51, 6, v50                              // 000000005B1C: 24666486
	v_and_b32_e32 v50, 15, v0                                  // 000000005B20: 2664008F
	v_lshlrev_b32_e32 v50, 1, v50                              // 000000005B24: 24646481
	v_add_u32_e32 v51, v50, v51                                // 000000005B28: 68666732
	v_lshlrev_b32_e32 v50, 2, v51                              // 000000005B2C: 24646682
	ds_read_b64 v[128:129], v50 offset:18688                   // 000000005B30: D8EC4900 80000032
	ds_read_b64 v[130:131], v50 offset:18816                   // 000000005B38: D8EC4980 82000032
	ds_read_b64 v[132:133], v50 offset:19712                   // 000000005B40: D8EC4D00 84000032
	ds_read_b64 v[134:135], v50 offset:19840                   // 000000005B48: D8EC4D80 86000032
	ds_read_b64 v[136:137], v50 offset:20736                   // 000000005B50: D8EC5100 88000032
	ds_read_b64 v[138:139], v50 offset:20864                   // 000000005B58: D8EC5180 8A000032
	ds_read_b64 v[140:141], v50 offset:21760                   // 000000005B60: D8EC5500 8C000032
	ds_read_b64 v[142:143], v50 offset:21888                   // 000000005B68: D8EC5580 8E000032
	ds_read_b64 v[144:145], v50 offset:22784                   // 000000005B70: D8EC5900 90000032
	ds_read_b64 v[146:147], v50 offset:22912                   // 000000005B78: D8EC5980 92000032
	ds_read_b64 v[148:149], v50 offset:23808                   // 000000005B80: D8EC5D00 94000032
	ds_read_b64 v[150:151], v50 offset:23936                   // 000000005B88: D8EC5D80 96000032
	ds_read_b64 v[152:153], v50 offset:24832                   // 000000005B90: D8EC6100 98000032
	ds_read_b64 v[154:155], v50 offset:24960                   // 000000005B98: D8EC6180 9A000032
	ds_read_b64 v[156:157], v50 offset:25856                   // 000000005BA0: D8EC6500 9C000032
	ds_read_b64 v[158:159], v50 offset:25984                   // 000000005BA8: D8EC6580 9E000032
	ds_read_b64 v[160:161], v50 offset:26880                   // 000000005BB0: D8EC6900 A0000032
	ds_read_b64 v[162:163], v50 offset:27008                   // 000000005BB8: D8EC6980 A2000032
	ds_read_b64 v[164:165], v50 offset:27904                   // 000000005BC0: D8EC6D00 A4000032
	ds_read_b64 v[166:167], v50 offset:28032                   // 000000005BC8: D8EC6D80 A6000032
	ds_read_b64 v[168:169], v50 offset:28928                   // 000000005BD0: D8EC7100 A8000032
	ds_read_b64 v[170:171], v50 offset:29056                   // 000000005BD8: D8EC7180 AA000032
	ds_read_b64 v[172:173], v50 offset:29952                   // 000000005BE0: D8EC7500 AC000032
	ds_read_b64 v[174:175], v50 offset:30080                   // 000000005BE8: D8EC7580 AE000032
	ds_read_b64 v[176:177], v50 offset:30976                   // 000000005BF0: D8EC7900 B0000032
	ds_read_b64 v[178:179], v50 offset:31104                   // 000000005BF8: D8EC7980 B2000032
	ds_read_b64 v[180:181], v50 offset:32000                   // 000000005C00: D8EC7D00 B4000032
	ds_read_b64 v[182:183], v50 offset:32128                   // 000000005C08: D8EC7D80 B6000032
	ds_read_b64 v[184:185], v50 offset:33024                   // 000000005C10: D8EC8100 B8000032
	ds_read_b64 v[186:187], v50 offset:33152                   // 000000005C18: D8EC8180 BA000032
	ds_read_b64 v[188:189], v50 offset:34048                   // 000000005C20: D8EC8500 BC000032
	ds_read_b64 v[190:191], v50 offset:34176                   // 000000005C28: D8EC8580 BE000032
	s_add_u32 s12, s56, s12                                    // 000000005C30: 800C0C38
	s_addc_u32 s13, 0, s13                                     // 000000005C34: 820D0D80
	s_add_u32 s16, s79, s16                                    // 000000005C38: 8010104F
	s_addc_u32 s17, 0, s17                                     // 000000005C3C: 82111180
	s_mov_b32 s80, 0                                           // 000000005C40: BED00080
	s_waitcnt vmcnt(0) expcnt(0) lgkmcnt(0)                    // 000000005C44: BF8C0000

0000000000005c48 <label_0C52>:
	s_waitcnt vmcnt(45)                                        // 000000005C48: BF8C8F7D
	s_barrier                                                  // 000000005C4C: BF8A0000
	v_mfma_i32_16x16x32_i8 v[192:195], a[0:1], v[128:129], 0   // 000000005C50: D3D700C0 0A030100
	v_mfma_i32_16x16x32_i8 v[192:195], a[2:3], v[130:131], v[192:195]// 000000005C58: D3D700C0 0F030502
	buffer_load_dwordx4 a[128:131], v42, s[12:15], 0 offen     // 000000005C60: E05C1000 8083802A
	v_mfma_i32_16x16x32_i8 v[196:199], a[0:1], v[160:161], 0   // 000000005C68: D3D700C4 0A034100
	v_mfma_i32_16x16x32_i8 v[196:199], a[2:3], v[162:163], v[196:199]// 000000005C70: D3D700C4 0F134502
	v_mfma_i32_16x16x32_i8 v[200:203], a[4:5], v[128:129], 0   // 000000005C78: D3D700C8 0A030104
	v_mfma_i32_16x16x32_i8 v[200:203], a[6:7], v[130:131], v[200:203]// 000000005C80: D3D700C8 0F230506
	buffer_load_dwordx4 a[132:135], v43, s[12:15], 0 offen     // 000000005C88: E05C1000 8083842B
	v_mfma_i32_16x16x32_i8 v[204:207], a[4:5], v[160:161], 0   // 000000005C90: D3D700CC 0A034104
	v_mfma_i32_16x16x32_i8 v[204:207], a[6:7], v[162:163], v[204:207]// 000000005C98: D3D700CC 0F334506
	v_mfma_i32_16x16x32_i8 v[208:211], a[8:9], v[128:129], 0   // 000000005CA0: D3D700D0 0A030108
	v_mfma_i32_16x16x32_i8 v[208:211], a[10:11], v[130:131], v[208:211]// 000000005CA8: D3D700D0 0F43050A
	buffer_load_dwordx4 a[136:139], v44, s[12:15], 0 offen     // 000000005CB0: E05C1000 8083882C
	v_mfma_i32_16x16x32_i8 v[212:215], a[8:9], v[160:161], 0   // 000000005CB8: D3D700D4 0A034108
	v_mfma_i32_16x16x32_i8 v[212:215], a[10:11], v[162:163], v[212:215]// 000000005CC0: D3D700D4 0F53450A
	v_mfma_i32_16x16x32_i8 v[216:219], a[12:13], v[128:129], 0 // 000000005CC8: D3D700D8 0A03010C
	v_mfma_i32_16x16x32_i8 v[216:219], a[14:15], v[130:131], v[216:219]// 000000005CD0: D3D700D8 0F63050E
	buffer_load_dwordx4 a[140:143], v45, s[12:15], 0 offen     // 000000005CD8: E05C1000 80838C2D
	s_add_u32 s12, s78, s12                                    // 000000005CE0: 800C0C4E
	s_addc_u32 s13, 0, s13                                     // 000000005CE4: 820D0D80
	v_mfma_i32_16x16x32_i8 v[220:223], a[12:13], v[160:161], 0 // 000000005CE8: D3D700DC 0A03410C
	v_mfma_i32_16x16x32_i8 v[220:223], a[14:15], v[162:163], v[220:223]// 000000005CF0: D3D700DC 0F73450E
	s_waitcnt vmcnt(45)                                        // 000000005CF8: BF8C8F7D
	v_mfma_i32_16x16x32_i8 v[192:195], a[16:17], v[132:133], v[192:195]// 000000005CFC: D3D700C0 0F030910
	v_mfma_i32_16x16x32_i8 v[192:195], a[18:19], v[134:135], v[192:195]// 000000005D04: D3D700C0 0F030D12
	buffer_load_dwordx4 a[144:147], v42, s[12:15], 0 offen     // 000000005D0C: E05C1000 8083902A
	v_mfma_i32_16x16x32_i8 v[196:199], a[16:17], v[164:165], v[196:199]// 000000005D14: D3D700C4 0F134910
	v_mfma_i32_16x16x32_i8 v[196:199], a[18:19], v[166:167], v[196:199]// 000000005D1C: D3D700C4 0F134D12
	v_mfma_i32_16x16x32_i8 v[200:203], a[20:21], v[132:133], v[200:203]// 000000005D24: D3D700C8 0F230914
	v_mfma_i32_16x16x32_i8 v[200:203], a[22:23], v[134:135], v[200:203]// 000000005D2C: D3D700C8 0F230D16
	buffer_load_dwordx4 a[148:151], v43, s[12:15], 0 offen     // 000000005D34: E05C1000 8083942B
	v_mfma_i32_16x16x32_i8 v[204:207], a[20:21], v[164:165], v[204:207]// 000000005D3C: D3D700CC 0F334914
	v_mfma_i32_16x16x32_i8 v[204:207], a[22:23], v[166:167], v[204:207]// 000000005D44: D3D700CC 0F334D16
	v_mfma_i32_16x16x32_i8 v[208:211], a[24:25], v[132:133], v[208:211]// 000000005D4C: D3D700D0 0F430918
	v_mfma_i32_16x16x32_i8 v[208:211], a[26:27], v[134:135], v[208:211]// 000000005D54: D3D700D0 0F430D1A
	buffer_load_dwordx4 a[152:155], v44, s[12:15], 0 offen     // 000000005D5C: E05C1000 8083982C
	v_mfma_i32_16x16x32_i8 v[212:215], a[24:25], v[164:165], v[212:215]// 000000005D64: D3D700D4 0F534918
	v_mfma_i32_16x16x32_i8 v[212:215], a[26:27], v[166:167], v[212:215]// 000000005D6C: D3D700D4 0F534D1A
	v_mfma_i32_16x16x32_i8 v[216:219], a[28:29], v[132:133], v[216:219]// 000000005D74: D3D700D8 0F63091C
	v_mfma_i32_16x16x32_i8 v[216:219], a[30:31], v[134:135], v[216:219]// 000000005D7C: D3D700D8 0F630D1E
	buffer_load_dwordx4 a[156:159], v45, s[12:15], 0 offen     // 000000005D84: E05C1000 80839C2D
	s_add_u32 s12, s78, s12                                    // 000000005D8C: 800C0C4E
	s_addc_u32 s13, 0, s13                                     // 000000005D90: 820D0D80
	v_mfma_i32_16x16x32_i8 v[220:223], a[28:29], v[164:165], v[220:223]// 000000005D94: D3D700DC 0F73491C
	v_mfma_i32_16x16x32_i8 v[220:223], a[30:31], v[166:167], v[220:223]// 000000005D9C: D3D700DC 0F734D1E
	s_waitcnt vmcnt(45)                                        // 000000005DA4: BF8C8F7D
	v_mfma_i32_16x16x32_i8 v[192:195], a[32:33], v[136:137], v[192:195]// 000000005DA8: D3D700C0 0F031120
	v_mfma_i32_16x16x32_i8 v[192:195], a[34:35], v[138:139], v[192:195]// 000000005DB0: D3D700C0 0F031522
	buffer_load_dwordx4 a[160:163], v42, s[12:15], 0 offen     // 000000005DB8: E05C1000 8083A02A
	v_mfma_i32_16x16x32_i8 v[196:199], a[32:33], v[168:169], v[196:199]// 000000005DC0: D3D700C4 0F135120
	v_mfma_i32_16x16x32_i8 v[196:199], a[34:35], v[170:171], v[196:199]// 000000005DC8: D3D700C4 0F135522
	v_mfma_i32_16x16x32_i8 v[200:203], a[36:37], v[136:137], v[200:203]// 000000005DD0: D3D700C8 0F231124
	v_mfma_i32_16x16x32_i8 v[200:203], a[38:39], v[138:139], v[200:203]// 000000005DD8: D3D700C8 0F231526
	buffer_load_dwordx4 a[164:167], v43, s[12:15], 0 offen     // 000000005DE0: E05C1000 8083A42B
	v_mfma_i32_16x16x32_i8 v[204:207], a[36:37], v[168:169], v[204:207]// 000000005DE8: D3D700CC 0F335124
	v_mfma_i32_16x16x32_i8 v[204:207], a[38:39], v[170:171], v[204:207]// 000000005DF0: D3D700CC 0F335526
	v_mfma_i32_16x16x32_i8 v[208:211], a[40:41], v[136:137], v[208:211]// 000000005DF8: D3D700D0 0F431128
	v_mfma_i32_16x16x32_i8 v[208:211], a[42:43], v[138:139], v[208:211]// 000000005E00: D3D700D0 0F43152A
	buffer_load_dwordx4 a[168:171], v44, s[12:15], 0 offen     // 000000005E08: E05C1000 8083A82C
	v_mfma_i32_16x16x32_i8 v[212:215], a[40:41], v[168:169], v[212:215]// 000000005E10: D3D700D4 0F535128
	v_mfma_i32_16x16x32_i8 v[212:215], a[42:43], v[170:171], v[212:215]// 000000005E18: D3D700D4 0F53552A
	v_mfma_i32_16x16x32_i8 v[216:219], a[44:45], v[136:137], v[216:219]// 000000005E20: D3D700D8 0F63112C
	v_mfma_i32_16x16x32_i8 v[216:219], a[46:47], v[138:139], v[216:219]// 000000005E28: D3D700D8 0F63152E
	buffer_load_dwordx4 a[172:175], v45, s[12:15], 0 offen     // 000000005E30: E05C1000 8083AC2D
	s_add_u32 s12, s78, s12                                    // 000000005E38: 800C0C4E
	s_addc_u32 s13, 0, s13                                     // 000000005E3C: 820D0D80
	v_mfma_i32_16x16x32_i8 v[220:223], a[44:45], v[168:169], v[220:223]// 000000005E40: D3D700DC 0F73512C
	v_mfma_i32_16x16x32_i8 v[220:223], a[46:47], v[170:171], v[220:223]// 000000005E48: D3D700DC 0F73552E
	s_waitcnt vmcnt(45)                                        // 000000005E50: BF8C8F7D
	v_mfma_i32_16x16x32_i8 v[192:195], a[48:49], v[140:141], v[192:195]// 000000005E54: D3D700C0 0F031930
	v_mfma_i32_16x16x32_i8 v[192:195], a[50:51], v[142:143], v[192:195]// 000000005E5C: D3D700C0 0F031D32
	buffer_load_dwordx4 a[176:179], v42, s[12:15], 0 offen     // 000000005E64: E05C1000 8083B02A
	v_mfma_i32_16x16x32_i8 v[196:199], a[48:49], v[172:173], v[196:199]// 000000005E6C: D3D700C4 0F135930
	v_mfma_i32_16x16x32_i8 v[196:199], a[50:51], v[174:175], v[196:199]// 000000005E74: D3D700C4 0F135D32
	v_mfma_i32_16x16x32_i8 v[200:203], a[52:53], v[140:141], v[200:203]// 000000005E7C: D3D700C8 0F231934
	v_mfma_i32_16x16x32_i8 v[200:203], a[54:55], v[142:143], v[200:203]// 000000005E84: D3D700C8 0F231D36
	buffer_load_dwordx4 a[180:183], v43, s[12:15], 0 offen     // 000000005E8C: E05C1000 8083B42B
	v_mfma_i32_16x16x32_i8 v[204:207], a[52:53], v[172:173], v[204:207]// 000000005E94: D3D700CC 0F335934
	v_mfma_i32_16x16x32_i8 v[204:207], a[54:55], v[174:175], v[204:207]// 000000005E9C: D3D700CC 0F335D36
	v_mfma_i32_16x16x32_i8 v[208:211], a[56:57], v[140:141], v[208:211]// 000000005EA4: D3D700D0 0F431938
	v_mfma_i32_16x16x32_i8 v[208:211], a[58:59], v[142:143], v[208:211]// 000000005EAC: D3D700D0 0F431D3A
	buffer_load_dwordx4 a[184:187], v44, s[12:15], 0 offen     // 000000005EB4: E05C1000 8083B82C
	v_mfma_i32_16x16x32_i8 v[212:215], a[56:57], v[172:173], v[212:215]// 000000005EBC: D3D700D4 0F535938
	v_mfma_i32_16x16x32_i8 v[212:215], a[58:59], v[174:175], v[212:215]// 000000005EC4: D3D700D4 0F535D3A
	v_mfma_i32_16x16x32_i8 v[216:219], a[60:61], v[140:141], v[216:219]// 000000005ECC: D3D700D8 0F63193C
	v_mfma_i32_16x16x32_i8 v[216:219], a[62:63], v[142:143], v[216:219]// 000000005ED4: D3D700D8 0F631D3E
	buffer_load_dwordx4 a[188:191], v45, s[12:15], 0 offen     // 000000005EDC: E05C1000 8083BC2D
	s_add_u32 s12, s78, s12                                    // 000000005EE4: 800C0C4E
	s_addc_u32 s13, 0, s13                                     // 000000005EE8: 820D0D80
	v_mfma_i32_16x16x32_i8 v[220:223], a[60:61], v[172:173], v[220:223]// 000000005EEC: D3D700DC 0F73593C
	v_mfma_i32_16x16x32_i8 v[220:223], a[62:63], v[174:175], v[220:223]// 000000005EF4: D3D700DC 0F735D3E
	s_waitcnt vmcnt(45)                                        // 000000005EFC: BF8C8F7D
	v_mfma_i32_16x16x32_i8 v[192:195], a[64:65], v[144:145], v[192:195]// 000000005F00: D3D700C0 0F032140
	v_mfma_i32_16x16x32_i8 v[192:195], a[66:67], v[146:147], v[192:195]// 000000005F08: D3D700C0 0F032542
	buffer_load_dwordx4 a[192:195], v42, s[12:15], 0 offen     // 000000005F10: E05C1000 8083C02A
	v_mfma_i32_16x16x32_i8 v[196:199], a[64:65], v[176:177], v[196:199]// 000000005F18: D3D700C4 0F136140
	v_mfma_i32_16x16x32_i8 v[196:199], a[66:67], v[178:179], v[196:199]// 000000005F20: D3D700C4 0F136542
	v_mfma_i32_16x16x32_i8 v[200:203], a[68:69], v[144:145], v[200:203]// 000000005F28: D3D700C8 0F232144
	v_mfma_i32_16x16x32_i8 v[200:203], a[70:71], v[146:147], v[200:203]// 000000005F30: D3D700C8 0F232546
	buffer_load_dwordx4 a[196:199], v43, s[12:15], 0 offen     // 000000005F38: E05C1000 8083C42B
	v_mfma_i32_16x16x32_i8 v[204:207], a[68:69], v[176:177], v[204:207]// 000000005F40: D3D700CC 0F336144
	v_mfma_i32_16x16x32_i8 v[204:207], a[70:71], v[178:179], v[204:207]// 000000005F48: D3D700CC 0F336546
	v_mfma_i32_16x16x32_i8 v[208:211], a[72:73], v[144:145], v[208:211]// 000000005F50: D3D700D0 0F432148
	v_mfma_i32_16x16x32_i8 v[208:211], a[74:75], v[146:147], v[208:211]// 000000005F58: D3D700D0 0F43254A
	buffer_load_dwordx4 a[200:203], v44, s[12:15], 0 offen     // 000000005F60: E05C1000 8083C82C
	v_mfma_i32_16x16x32_i8 v[212:215], a[72:73], v[176:177], v[212:215]// 000000005F68: D3D700D4 0F536148
	v_mfma_i32_16x16x32_i8 v[212:215], a[74:75], v[178:179], v[212:215]// 000000005F70: D3D700D4 0F53654A
	v_mfma_i32_16x16x32_i8 v[216:219], a[76:77], v[144:145], v[216:219]// 000000005F78: D3D700D8 0F63214C
	v_mfma_i32_16x16x32_i8 v[216:219], a[78:79], v[146:147], v[216:219]// 000000005F80: D3D700D8 0F63254E
	buffer_load_dwordx4 a[204:207], v45, s[12:15], 0 offen     // 000000005F88: E05C1000 8083CC2D
	s_add_u32 s12, s78, s12                                    // 000000005F90: 800C0C4E
	s_addc_u32 s13, 0, s13                                     // 000000005F94: 820D0D80
	v_mfma_i32_16x16x32_i8 v[220:223], a[76:77], v[176:177], v[220:223]// 000000005F98: D3D700DC 0F73614C
	v_mfma_i32_16x16x32_i8 v[220:223], a[78:79], v[178:179], v[220:223]// 000000005FA0: D3D700DC 0F73654E
	s_waitcnt vmcnt(45)                                        // 000000005FA8: BF8C8F7D
	v_mfma_i32_16x16x32_i8 v[192:195], a[80:81], v[148:149], v[192:195]// 000000005FAC: D3D700C0 0F032950
	v_mfma_i32_16x16x32_i8 v[192:195], a[82:83], v[150:151], v[192:195]// 000000005FB4: D3D700C0 0F032D52
	buffer_load_dwordx4 a[208:211], v42, s[12:15], 0 offen     // 000000005FBC: E05C1000 8083D02A
	v_mfma_i32_16x16x32_i8 v[196:199], a[80:81], v[180:181], v[196:199]// 000000005FC4: D3D700C4 0F136950
	v_mfma_i32_16x16x32_i8 v[196:199], a[82:83], v[182:183], v[196:199]// 000000005FCC: D3D700C4 0F136D52
	v_mfma_i32_16x16x32_i8 v[200:203], a[84:85], v[148:149], v[200:203]// 000000005FD4: D3D700C8 0F232954
	v_mfma_i32_16x16x32_i8 v[200:203], a[86:87], v[150:151], v[200:203]// 000000005FDC: D3D700C8 0F232D56
	buffer_load_dwordx4 a[212:215], v43, s[12:15], 0 offen     // 000000005FE4: E05C1000 8083D42B
	v_mfma_i32_16x16x32_i8 v[204:207], a[84:85], v[180:181], v[204:207]// 000000005FEC: D3D700CC 0F336954
	v_mfma_i32_16x16x32_i8 v[204:207], a[86:87], v[182:183], v[204:207]// 000000005FF4: D3D700CC 0F336D56
	v_mfma_i32_16x16x32_i8 v[208:211], a[88:89], v[148:149], v[208:211]// 000000005FFC: D3D700D0 0F432958
	v_mfma_i32_16x16x32_i8 v[208:211], a[90:91], v[150:151], v[208:211]// 000000006004: D3D700D0 0F432D5A
	buffer_load_dwordx4 a[216:219], v44, s[12:15], 0 offen     // 00000000600C: E05C1000 8083D82C
	v_mfma_i32_16x16x32_i8 v[212:215], a[88:89], v[180:181], v[212:215]// 000000006014: D3D700D4 0F536958
	v_mfma_i32_16x16x32_i8 v[212:215], a[90:91], v[182:183], v[212:215]// 00000000601C: D3D700D4 0F536D5A
	v_mfma_i32_16x16x32_i8 v[216:219], a[92:93], v[148:149], v[216:219]// 000000006024: D3D700D8 0F63295C
	v_mfma_i32_16x16x32_i8 v[216:219], a[94:95], v[150:151], v[216:219]// 00000000602C: D3D700D8 0F632D5E
	buffer_load_dwordx4 a[220:223], v45, s[12:15], 0 offen     // 000000006034: E05C1000 8083DC2D
	s_add_u32 s12, s78, s12                                    // 00000000603C: 800C0C4E
	s_addc_u32 s13, 0, s13                                     // 000000006040: 820D0D80
	v_mfma_i32_16x16x32_i8 v[220:223], a[92:93], v[180:181], v[220:223]// 000000006044: D3D700DC 0F73695C
	v_mfma_i32_16x16x32_i8 v[220:223], a[94:95], v[182:183], v[220:223]// 00000000604C: D3D700DC 0F736D5E
	s_waitcnt vmcnt(45)                                        // 000000006054: BF8C8F7D
	v_mfma_i32_16x16x32_i8 v[192:195], a[96:97], v[152:153], v[192:195]// 000000006058: D3D700C0 0F033160
	v_mfma_i32_16x16x32_i8 v[192:195], a[98:99], v[154:155], v[192:195]// 000000006060: D3D700C0 0F033562
	buffer_load_dwordx4 a[224:227], v42, s[12:15], 0 offen     // 000000006068: E05C1000 8083E02A
	v_mfma_i32_16x16x32_i8 v[196:199], a[96:97], v[184:185], v[196:199]// 000000006070: D3D700C4 0F137160
	v_mfma_i32_16x16x32_i8 v[196:199], a[98:99], v[186:187], v[196:199]// 000000006078: D3D700C4 0F137562
	v_mfma_i32_16x16x32_i8 v[200:203], a[100:101], v[152:153], v[200:203]// 000000006080: D3D700C8 0F233164
	v_mfma_i32_16x16x32_i8 v[200:203], a[102:103], v[154:155], v[200:203]// 000000006088: D3D700C8 0F233566
	buffer_load_dwordx4 a[228:231], v43, s[12:15], 0 offen     // 000000006090: E05C1000 8083E42B
	v_mfma_i32_16x16x32_i8 v[204:207], a[100:101], v[184:185], v[204:207]// 000000006098: D3D700CC 0F337164
	v_mfma_i32_16x16x32_i8 v[204:207], a[102:103], v[186:187], v[204:207]// 0000000060A0: D3D700CC 0F337566
	v_mfma_i32_16x16x32_i8 v[208:211], a[104:105], v[152:153], v[208:211]// 0000000060A8: D3D700D0 0F433168
	v_mfma_i32_16x16x32_i8 v[208:211], a[106:107], v[154:155], v[208:211]// 0000000060B0: D3D700D0 0F43356A
	buffer_load_dwordx4 a[232:235], v44, s[12:15], 0 offen     // 0000000060B8: E05C1000 8083E82C
	v_mfma_i32_16x16x32_i8 v[212:215], a[104:105], v[184:185], v[212:215]// 0000000060C0: D3D700D4 0F537168
	v_mfma_i32_16x16x32_i8 v[212:215], a[106:107], v[186:187], v[212:215]// 0000000060C8: D3D700D4 0F53756A
	v_mfma_i32_16x16x32_i8 v[216:219], a[108:109], v[152:153], v[216:219]// 0000000060D0: D3D700D8 0F63316C
	v_mfma_i32_16x16x32_i8 v[216:219], a[110:111], v[154:155], v[216:219]// 0000000060D8: D3D700D8 0F63356E
	buffer_load_dwordx4 a[236:239], v45, s[12:15], 0 offen     // 0000000060E0: E05C1000 8083EC2D
	s_add_u32 s12, s78, s12                                    // 0000000060E8: 800C0C4E
	s_addc_u32 s13, 0, s13                                     // 0000000060EC: 820D0D80
	v_mfma_i32_16x16x32_i8 v[220:223], a[108:109], v[184:185], v[220:223]// 0000000060F0: D3D700DC 0F73716C
	v_mfma_i32_16x16x32_i8 v[220:223], a[110:111], v[186:187], v[220:223]// 0000000060F8: D3D700DC 0F73756E
	s_waitcnt vmcnt(44)                                        // 000000006100: BF8C8F7C
	v_mfma_i32_16x16x32_i8 v[192:195], a[112:113], v[156:157], v[192:195]// 000000006104: D3D700C0 0F033970
	v_mfma_i32_16x16x32_i8 v[192:195], a[114:115], v[158:159], v[192:195]// 00000000610C: D3D700C0 0F033D72
	buffer_load_dwordx4 a[240:243], v42, s[12:15], 0 offen     // 000000006114: E05C1000 8083F02A
	v_mfma_i32_16x16x32_i8 v[196:199], a[112:113], v[188:189], v[196:199]// 00000000611C: D3D700C4 0F137970
	v_mfma_i32_16x16x32_i8 v[196:199], a[114:115], v[190:191], v[196:199]// 000000006124: D3D700C4 0F137D72
	buffer_load_dword v13, v5, s[16:19], 0 offen               // 00000000612C: E0501000 80040D05
	v_mfma_i32_16x16x32_i8 v[200:203], a[116:117], v[156:157], v[200:203]// 000000006134: D3D700C8 0F233974
	v_mfma_i32_16x16x32_i8 v[200:203], a[118:119], v[158:159], v[200:203]// 00000000613C: D3D700C8 0F233D76
	buffer_load_dwordx4 a[244:247], v43, s[12:15], 0 offen     // 000000006144: E05C1000 8083F42B
	v_mfma_i32_16x16x32_i8 v[204:207], a[116:117], v[188:189], v[204:207]// 00000000614C: D3D700CC 0F337974
	v_mfma_i32_16x16x32_i8 v[204:207], a[118:119], v[190:191], v[204:207]// 000000006154: D3D700CC 0F337D76
	v_mfma_i32_16x16x32_i8 v[208:211], a[120:121], v[156:157], v[208:211]// 00000000615C: D3D700D0 0F433978
	v_mfma_i32_16x16x32_i8 v[208:211], a[122:123], v[158:159], v[208:211]// 000000006164: D3D700D0 0F433D7A
	buffer_load_dwordx4 a[248:251], v44, s[12:15], 0 offen     // 00000000616C: E05C1000 8083F82C
	v_mfma_i32_16x16x32_i8 v[212:215], a[120:121], v[188:189], v[212:215]// 000000006174: D3D700D4 0F537978
	v_mfma_i32_16x16x32_i8 v[212:215], a[122:123], v[190:191], v[212:215]// 00000000617C: D3D700D4 0F537D7A
	v_mfma_i32_16x16x32_i8 v[216:219], a[124:125], v[156:157], v[216:219]// 000000006184: D3D700D8 0F63397C
	v_mfma_i32_16x16x32_i8 v[216:219], a[126:127], v[158:159], v[216:219]// 00000000618C: D3D700D8 0F633D7E
	buffer_load_dwordx4 a[252:255], v45, s[12:15], 0 offen     // 000000006194: E05C1000 8083FC2D
	v_mfma_i32_16x16x32_i8 v[220:223], a[124:125], v[188:189], v[220:223]// 00000000619C: D3D700DC 0F73797C
	v_mfma_i32_16x16x32_i8 v[220:223], a[126:127], v[190:191], v[220:223]// 0000000061A4: D3D700DC 0F737D7E
	s_add_u32 s60, 0x200, s80                                  // 0000000061AC: 803C50FF 00000200
	s_cmp_lt_u32 s60, s81                                      // 0000000061B4: BF0A513C
	s_cselect_b32 s56, s56, 0                                  // 0000000061B8: 85388038
	s_cselect_b32 s78, s78, 0                                  // 0000000061BC: 854E804E
	s_cselect_b32 s79, s79, 0                                  // 0000000061C0: 854F804F
	s_add_u32 s12, s56, s12                                    // 0000000061C4: 800C0C38
	s_addc_u32 s13, 0, s13                                     // 0000000061C8: 820D0D80
	s_add_u32 s16, s79, s16                                    // 0000000061CC: 8010104F
	s_addc_u32 s17, 0, s17                                     // 0000000061D0: 82111180
	v_cvt_f32_i32_e32 v192, v192                               // 0000000061D4: 7F800BC0
	v_cvt_f32_i32_e32 v193, v193                               // 0000000061D8: 7F820BC1
	v_cvt_f32_i32_e32 v194, v194                               // 0000000061DC: 7F840BC2
	v_cvt_f32_i32_e32 v195, v195                               // 0000000061E0: 7F860BC3
	v_mul_f32_e32 v192, v24, v192                              // 0000000061E4: 0B818118
	v_mul_f32_e32 v193, v24, v193                              // 0000000061E8: 0B838318
	v_mul_f32_e32 v194, v24, v194                              // 0000000061EC: 0B858518
	v_mul_f32_e32 v195, v24, v195                              // 0000000061F0: 0B878718
	v_mul_f32_dpp v192, v12, v192 row_newbcast:0 row_mask:0xf bank_mask:0xf// 0000000061F4: 0B8180FA FF01500C
	v_mul_f32_dpp v193, v12, v193 row_newbcast:1 row_mask:0xf bank_mask:0xf// 0000000061FC: 0B8382FA FF01510C
	v_mul_f32_dpp v194, v12, v194 row_newbcast:2 row_mask:0xf bank_mask:0xf// 000000006204: 0B8584FA FF01520C
	v_mul_f32_dpp v195, v12, v195 row_newbcast:3 row_mask:0xf bank_mask:0xf// 00000000620C: 0B8786FA FF01530C
	v_mul_f32_e32 v192, v20, v192                              // 000000006214: 0B818114
	v_mul_f32_e32 v193, v20, v193                              // 000000006218: 0B838314
	v_mul_f32_e32 v194, v20, v194                              // 00000000621C: 0B858514
	v_mul_f32_e32 v195, v20, v195                              // 000000006220: 0B878714
	v_cvt_f32_i32_e32 v196, v196                               // 000000006224: 7F880BC4
	v_cvt_f32_i32_e32 v197, v197                               // 000000006228: 7F8A0BC5
	v_cvt_f32_i32_e32 v198, v198                               // 00000000622C: 7F8C0BC6
	v_cvt_f32_i32_e32 v199, v199                               // 000000006230: 7F8E0BC7
	v_mul_f32_e32 v196, v25, v196                              // 000000006234: 0B898919
	v_mul_f32_e32 v197, v25, v197                              // 000000006238: 0B8B8B19
	v_mul_f32_e32 v198, v25, v198                              // 00000000623C: 0B8D8D19
	v_mul_f32_e32 v199, v25, v199                              // 000000006240: 0B8F8F19
	v_mul_f32_dpp v196, v12, v196 row_newbcast:0 row_mask:0xf bank_mask:0xf// 000000006244: 0B8988FA FF01500C
	v_mul_f32_dpp v197, v12, v197 row_newbcast:1 row_mask:0xf bank_mask:0xf// 00000000624C: 0B8B8AFA FF01510C
	v_mul_f32_dpp v198, v12, v198 row_newbcast:2 row_mask:0xf bank_mask:0xf// 000000006254: 0B8D8CFA FF01520C
	v_mul_f32_dpp v199, v12, v199 row_newbcast:3 row_mask:0xf bank_mask:0xf// 00000000625C: 0B8F8EFA FF01530C
	v_mul_f32_e32 v196, v21, v196                              // 000000006264: 0B898915
	v_mul_f32_e32 v197, v21, v197                              // 000000006268: 0B8B8B15
	v_mul_f32_e32 v198, v21, v198                              // 00000000626C: 0B8D8D15
	v_mul_f32_e32 v199, v21, v199                              // 000000006270: 0B8F8F15
	v_cvt_f32_i32_e32 v200, v200                               // 000000006274: 7F900BC8
	v_cvt_f32_i32_e32 v201, v201                               // 000000006278: 7F920BC9
	v_cvt_f32_i32_e32 v202, v202                               // 00000000627C: 7F940BCA
	v_cvt_f32_i32_e32 v203, v203                               // 000000006280: 7F960BCB
	v_mul_f32_e32 v200, v24, v200                              // 000000006284: 0B919118
	v_mul_f32_e32 v201, v24, v201                              // 000000006288: 0B939318
	v_mul_f32_e32 v202, v24, v202                              // 00000000628C: 0B959518
	v_mul_f32_e32 v203, v24, v203                              // 000000006290: 0B979718
	v_mul_f32_dpp v200, v12, v200 row_newbcast:4 row_mask:0xf bank_mask:0xf// 000000006294: 0B9190FA FF01540C
	v_mul_f32_dpp v201, v12, v201 row_newbcast:5 row_mask:0xf bank_mask:0xf// 00000000629C: 0B9392FA FF01550C
	v_mul_f32_dpp v202, v12, v202 row_newbcast:6 row_mask:0xf bank_mask:0xf// 0000000062A4: 0B9594FA FF01560C
	v_mul_f32_dpp v203, v12, v203 row_newbcast:7 row_mask:0xf bank_mask:0xf// 0000000062AC: 0B9796FA FF01570C
	v_mul_f32_e32 v200, v20, v200                              // 0000000062B4: 0B919114
	v_mul_f32_e32 v201, v20, v201                              // 0000000062B8: 0B939314
	v_mul_f32_e32 v202, v20, v202                              // 0000000062BC: 0B959514
	v_mul_f32_e32 v203, v20, v203                              // 0000000062C0: 0B979714
	v_cvt_f32_i32_e32 v204, v204                               // 0000000062C4: 7F980BCC
	v_cvt_f32_i32_e32 v205, v205                               // 0000000062C8: 7F9A0BCD
	v_cvt_f32_i32_e32 v206, v206                               // 0000000062CC: 7F9C0BCE
	v_cvt_f32_i32_e32 v207, v207                               // 0000000062D0: 7F9E0BCF
	v_mul_f32_e32 v204, v25, v204                              // 0000000062D4: 0B999919
	v_mul_f32_e32 v205, v25, v205                              // 0000000062D8: 0B9B9B19
	v_mul_f32_e32 v206, v25, v206                              // 0000000062DC: 0B9D9D19
	v_mul_f32_e32 v207, v25, v207                              // 0000000062E0: 0B9F9F19
	v_mul_f32_dpp v204, v12, v204 row_newbcast:4 row_mask:0xf bank_mask:0xf// 0000000062E4: 0B9998FA FF01540C
	v_mul_f32_dpp v205, v12, v205 row_newbcast:5 row_mask:0xf bank_mask:0xf// 0000000062EC: 0B9B9AFA FF01550C
	v_mul_f32_dpp v206, v12, v206 row_newbcast:6 row_mask:0xf bank_mask:0xf// 0000000062F4: 0B9D9CFA FF01560C
	v_mul_f32_dpp v207, v12, v207 row_newbcast:7 row_mask:0xf bank_mask:0xf// 0000000062FC: 0B9F9EFA FF01570C
	v_mul_f32_e32 v204, v21, v204                              // 000000006304: 0B999915
	v_mul_f32_e32 v205, v21, v205                              // 000000006308: 0B9B9B15
	v_mul_f32_e32 v206, v21, v206                              // 00000000630C: 0B9D9D15
	v_mul_f32_e32 v207, v21, v207                              // 000000006310: 0B9F9F15
	v_cvt_f32_i32_e32 v208, v208                               // 000000006314: 7FA00BD0
	v_cvt_f32_i32_e32 v209, v209                               // 000000006318: 7FA20BD1
	v_cvt_f32_i32_e32 v210, v210                               // 00000000631C: 7FA40BD2
	v_cvt_f32_i32_e32 v211, v211                               // 000000006320: 7FA60BD3
	v_mul_f32_e32 v208, v24, v208                              // 000000006324: 0BA1A118
	v_mul_f32_e32 v209, v24, v209                              // 000000006328: 0BA3A318
	v_mul_f32_e32 v210, v24, v210                              // 00000000632C: 0BA5A518
	v_mul_f32_e32 v211, v24, v211                              // 000000006330: 0BA7A718
	v_mul_f32_dpp v208, v12, v208 row_newbcast:8 row_mask:0xf bank_mask:0xf// 000000006334: 0BA1A0FA FF01580C
	v_mul_f32_dpp v209, v12, v209 row_newbcast:9 row_mask:0xf bank_mask:0xf// 00000000633C: 0BA3A2FA FF01590C
	v_mul_f32_dpp v210, v12, v210 row_newbcast:10 row_mask:0xf bank_mask:0xf// 000000006344: 0BA5A4FA FF015A0C
	v_mul_f32_dpp v211, v12, v211 row_newbcast:11 row_mask:0xf bank_mask:0xf// 00000000634C: 0BA7A6FA FF015B0C
	v_mul_f32_e32 v208, v20, v208                              // 000000006354: 0BA1A114
	v_mul_f32_e32 v209, v20, v209                              // 000000006358: 0BA3A314
	v_mul_f32_e32 v210, v20, v210                              // 00000000635C: 0BA5A514
	v_mul_f32_e32 v211, v20, v211                              // 000000006360: 0BA7A714
	v_cvt_f32_i32_e32 v212, v212                               // 000000006364: 7FA80BD4
	v_cvt_f32_i32_e32 v213, v213                               // 000000006368: 7FAA0BD5
	v_cvt_f32_i32_e32 v214, v214                               // 00000000636C: 7FAC0BD6
	v_cvt_f32_i32_e32 v215, v215                               // 000000006370: 7FAE0BD7
	v_mul_f32_e32 v212, v25, v212                              // 000000006374: 0BA9A919
	v_mul_f32_e32 v213, v25, v213                              // 000000006378: 0BABAB19
	v_mul_f32_e32 v214, v25, v214                              // 00000000637C: 0BADAD19
	v_mul_f32_e32 v215, v25, v215                              // 000000006380: 0BAFAF19
	v_mul_f32_dpp v212, v12, v212 row_newbcast:8 row_mask:0xf bank_mask:0xf// 000000006384: 0BA9A8FA FF01580C
	v_mul_f32_dpp v213, v12, v213 row_newbcast:9 row_mask:0xf bank_mask:0xf// 00000000638C: 0BABAAFA FF01590C
	v_mul_f32_dpp v214, v12, v214 row_newbcast:10 row_mask:0xf bank_mask:0xf// 000000006394: 0BADACFA FF015A0C
	v_mul_f32_dpp v215, v12, v215 row_newbcast:11 row_mask:0xf bank_mask:0xf// 00000000639C: 0BAFAEFA FF015B0C
	v_mul_f32_e32 v212, v21, v212                              // 0000000063A4: 0BA9A915
	v_mul_f32_e32 v213, v21, v213                              // 0000000063A8: 0BABAB15
	v_mul_f32_e32 v214, v21, v214                              // 0000000063AC: 0BADAD15
	v_mul_f32_e32 v215, v21, v215                              // 0000000063B0: 0BAFAF15
	v_cvt_f32_i32_e32 v216, v216                               // 0000000063B4: 7FB00BD8
	v_cvt_f32_i32_e32 v217, v217                               // 0000000063B8: 7FB20BD9
	v_cvt_f32_i32_e32 v218, v218                               // 0000000063BC: 7FB40BDA
	v_cvt_f32_i32_e32 v219, v219                               // 0000000063C0: 7FB60BDB
	v_mul_f32_e32 v216, v24, v216                              // 0000000063C4: 0BB1B118
	v_mul_f32_e32 v217, v24, v217                              // 0000000063C8: 0BB3B318
	v_mul_f32_e32 v218, v24, v218                              // 0000000063CC: 0BB5B518
	v_mul_f32_e32 v219, v24, v219                              // 0000000063D0: 0BB7B718
	v_mul_f32_dpp v216, v12, v216 row_newbcast:12 row_mask:0xf bank_mask:0xf// 0000000063D4: 0BB1B0FA FF015C0C
	v_mul_f32_dpp v217, v12, v217 row_newbcast:13 row_mask:0xf bank_mask:0xf// 0000000063DC: 0BB3B2FA FF015D0C
	v_mul_f32_dpp v218, v12, v218 row_newbcast:14 row_mask:0xf bank_mask:0xf// 0000000063E4: 0BB5B4FA FF015E0C
	v_mul_f32_dpp v219, v12, v219 row_newbcast:15 row_mask:0xf bank_mask:0xf// 0000000063EC: 0BB7B6FA FF015F0C
	v_mul_f32_e32 v216, v20, v216                              // 0000000063F4: 0BB1B114
	v_mul_f32_e32 v217, v20, v217                              // 0000000063F8: 0BB3B314
	v_mul_f32_e32 v218, v20, v218                              // 0000000063FC: 0BB5B514
	v_mul_f32_e32 v219, v20, v219                              // 000000006400: 0BB7B714
	v_cvt_f32_i32_e32 v220, v220                               // 000000006404: 7FB80BDC
	v_cvt_f32_i32_e32 v221, v221                               // 000000006408: 7FBA0BDD
	v_cvt_f32_i32_e32 v222, v222                               // 00000000640C: 7FBC0BDE
	v_cvt_f32_i32_e32 v223, v223                               // 000000006410: 7FBE0BDF
	v_mul_f32_e32 v220, v25, v220                              // 000000006414: 0BB9B919
	v_mul_f32_e32 v221, v25, v221                              // 000000006418: 0BBBBB19
	v_mul_f32_e32 v222, v25, v222                              // 00000000641C: 0BBDBD19
	v_mul_f32_e32 v223, v25, v223                              // 000000006420: 0BBFBF19
	v_mul_f32_dpp v220, v12, v220 row_newbcast:12 row_mask:0xf bank_mask:0xf// 000000006424: 0BB9B8FA FF015C0C
	v_mul_f32_dpp v221, v12, v221 row_newbcast:13 row_mask:0xf bank_mask:0xf// 00000000642C: 0BBBBAFA FF015D0C
	v_mul_f32_dpp v222, v12, v222 row_newbcast:14 row_mask:0xf bank_mask:0xf// 000000006434: 0BBDBCFA FF015E0C
	v_mul_f32_dpp v223, v12, v223 row_newbcast:15 row_mask:0xf bank_mask:0xf// 00000000643C: 0BBFBEFA FF015F0C
	v_mul_f32_e32 v220, v21, v220                              // 000000006444: 0BB9B915
	v_mul_f32_e32 v221, v21, v221                              // 000000006448: 0BBBBB15
	v_mul_f32_e32 v222, v21, v222                              // 00000000644C: 0BBDBD15
	v_mul_f32_e32 v223, v21, v223                              // 000000006450: 0BBFBF15
	v_cmp_u_f32_e64 s[48:49], v192, v192                       // 000000006454: D0480030 000381C0
	v_add3_u32 v46, v192, v49, 1                               // 00000000645C: D1FF002E 020663C0
	v_cndmask_b32_e64 v50, v46, v48, s[48:49]                  // 000000006464: D1000032 00C2612E
	v_cmp_u_f32_e64 s[48:49], v193, v193                       // 00000000646C: D0480030 000383C1
	v_add3_u32 v46, v193, v49, 1                               // 000000006474: D1FF002E 020663C1
	v_cndmask_b32_e64 v51, v46, v48, s[48:49]                  // 00000000647C: D1000033 00C2612E
	v_perm_b32 v192, v51, v50, s52                             // 000000006484: D1ED00C0 00D26533
	v_cmp_u_f32_e64 s[48:49], v194, v194                       // 00000000648C: D0480030 000385C2
	v_add3_u32 v46, v194, v49, 1                               // 000000006494: D1FF002E 020663C2
	v_cndmask_b32_e64 v50, v46, v48, s[48:49]                  // 00000000649C: D1000032 00C2612E
	v_cmp_u_f32_e64 s[48:49], v195, v195                       // 0000000064A4: D0480030 000387C3
	v_add3_u32 v46, v195, v49, 1                               // 0000000064AC: D1FF002E 020663C3
	v_cndmask_b32_e64 v51, v46, v48, s[48:49]                  // 0000000064B4: D1000033 00C2612E
	v_perm_b32 v193, v51, v50, s52                             // 0000000064BC: D1ED00C1 00D26533
	v_cmp_u_f32_e64 s[48:49], v196, v196                       // 0000000064C4: D0480030 000389C4
	v_add3_u32 v46, v196, v49, 1                               // 0000000064CC: D1FF002E 020663C4
	v_cndmask_b32_e64 v50, v46, v48, s[48:49]                  // 0000000064D4: D1000032 00C2612E
	v_cmp_u_f32_e64 s[48:49], v197, v197                       // 0000000064DC: D0480030 00038BC5
	v_add3_u32 v46, v197, v49, 1                               // 0000000064E4: D1FF002E 020663C5
	v_cndmask_b32_e64 v51, v46, v48, s[48:49]                  // 0000000064EC: D1000033 00C2612E
	v_perm_b32 v194, v51, v50, s52                             // 0000000064F4: D1ED00C2 00D26533
	v_cmp_u_f32_e64 s[48:49], v198, v198                       // 0000000064FC: D0480030 00038DC6
	v_add3_u32 v46, v198, v49, 1                               // 000000006504: D1FF002E 020663C6
	v_cndmask_b32_e64 v50, v46, v48, s[48:49]                  // 00000000650C: D1000032 00C2612E
	v_cmp_u_f32_e64 s[48:49], v199, v199                       // 000000006514: D0480030 00038FC7
	v_add3_u32 v46, v199, v49, 1                               // 00000000651C: D1FF002E 020663C7
	v_cndmask_b32_e64 v51, v46, v48, s[48:49]                  // 000000006524: D1000033 00C2612E
	v_perm_b32 v195, v51, v50, s52                             // 00000000652C: D1ED00C3 00D26533
	v_cmp_u_f32_e64 s[48:49], v200, v200                       // 000000006534: D0480030 000391C8
	v_add3_u32 v46, v200, v49, 1                               // 00000000653C: D1FF002E 020663C8
	v_cndmask_b32_e64 v50, v46, v48, s[48:49]                  // 000000006544: D1000032 00C2612E
	v_cmp_u_f32_e64 s[48:49], v201, v201                       // 00000000654C: D0480030 000393C9
	v_add3_u32 v46, v201, v49, 1                               // 000000006554: D1FF002E 020663C9
	v_cndmask_b32_e64 v51, v46, v48, s[48:49]                  // 00000000655C: D1000033 00C2612E
	v_perm_b32 v196, v51, v50, s52                             // 000000006564: D1ED00C4 00D26533
	v_cmp_u_f32_e64 s[48:49], v202, v202                       // 00000000656C: D0480030 000395CA
	v_add3_u32 v46, v202, v49, 1                               // 000000006574: D1FF002E 020663CA
	v_cndmask_b32_e64 v50, v46, v48, s[48:49]                  // 00000000657C: D1000032 00C2612E
	v_cmp_u_f32_e64 s[48:49], v203, v203                       // 000000006584: D0480030 000397CB
	v_add3_u32 v46, v203, v49, 1                               // 00000000658C: D1FF002E 020663CB
	v_cndmask_b32_e64 v51, v46, v48, s[48:49]                  // 000000006594: D1000033 00C2612E
	v_perm_b32 v197, v51, v50, s52                             // 00000000659C: D1ED00C5 00D26533
	v_cmp_u_f32_e64 s[48:49], v204, v204                       // 0000000065A4: D0480030 000399CC
	v_add3_u32 v46, v204, v49, 1                               // 0000000065AC: D1FF002E 020663CC
	v_cndmask_b32_e64 v50, v46, v48, s[48:49]                  // 0000000065B4: D1000032 00C2612E
	v_cmp_u_f32_e64 s[48:49], v205, v205                       // 0000000065BC: D0480030 00039BCD
	v_add3_u32 v46, v205, v49, 1                               // 0000000065C4: D1FF002E 020663CD
	v_cndmask_b32_e64 v51, v46, v48, s[48:49]                  // 0000000065CC: D1000033 00C2612E
	v_perm_b32 v198, v51, v50, s52                             // 0000000065D4: D1ED00C6 00D26533
	v_cmp_u_f32_e64 s[48:49], v206, v206                       // 0000000065DC: D0480030 00039DCE
	v_add3_u32 v46, v206, v49, 1                               // 0000000065E4: D1FF002E 020663CE
	v_cndmask_b32_e64 v50, v46, v48, s[48:49]                  // 0000000065EC: D1000032 00C2612E
	v_cmp_u_f32_e64 s[48:49], v207, v207                       // 0000000065F4: D0480030 00039FCF
	v_add3_u32 v46, v207, v49, 1                               // 0000000065FC: D1FF002E 020663CF
	v_cndmask_b32_e64 v51, v46, v48, s[48:49]                  // 000000006604: D1000033 00C2612E
	v_perm_b32 v199, v51, v50, s52                             // 00000000660C: D1ED00C7 00D26533
	v_cmp_u_f32_e64 s[48:49], v208, v208                       // 000000006614: D0480030 0003A1D0
	v_add3_u32 v46, v208, v49, 1                               // 00000000661C: D1FF002E 020663D0
	v_cndmask_b32_e64 v50, v46, v48, s[48:49]                  // 000000006624: D1000032 00C2612E
	v_cmp_u_f32_e64 s[48:49], v209, v209                       // 00000000662C: D0480030 0003A3D1
	v_add3_u32 v46, v209, v49, 1                               // 000000006634: D1FF002E 020663D1
	v_cndmask_b32_e64 v51, v46, v48, s[48:49]                  // 00000000663C: D1000033 00C2612E
	v_perm_b32 v200, v51, v50, s52                             // 000000006644: D1ED00C8 00D26533
	v_cmp_u_f32_e64 s[48:49], v210, v210                       // 00000000664C: D0480030 0003A5D2
	v_add3_u32 v46, v210, v49, 1                               // 000000006654: D1FF002E 020663D2
	v_cndmask_b32_e64 v50, v46, v48, s[48:49]                  // 00000000665C: D1000032 00C2612E
	v_cmp_u_f32_e64 s[48:49], v211, v211                       // 000000006664: D0480030 0003A7D3
	v_add3_u32 v46, v211, v49, 1                               // 00000000666C: D1FF002E 020663D3
	v_cndmask_b32_e64 v51, v46, v48, s[48:49]                  // 000000006674: D1000033 00C2612E
	v_perm_b32 v201, v51, v50, s52                             // 00000000667C: D1ED00C9 00D26533
	v_cmp_u_f32_e64 s[48:49], v212, v212                       // 000000006684: D0480030 0003A9D4
	v_add3_u32 v46, v212, v49, 1                               // 00000000668C: D1FF002E 020663D4
	v_cndmask_b32_e64 v50, v46, v48, s[48:49]                  // 000000006694: D1000032 00C2612E
	v_cmp_u_f32_e64 s[48:49], v213, v213                       // 00000000669C: D0480030 0003ABD5
	v_add3_u32 v46, v213, v49, 1                               // 0000000066A4: D1FF002E 020663D5
	v_cndmask_b32_e64 v51, v46, v48, s[48:49]                  // 0000000066AC: D1000033 00C2612E
	v_perm_b32 v202, v51, v50, s52                             // 0000000066B4: D1ED00CA 00D26533
	v_cmp_u_f32_e64 s[48:49], v214, v214                       // 0000000066BC: D0480030 0003ADD6
	v_add3_u32 v46, v214, v49, 1                               // 0000000066C4: D1FF002E 020663D6
	v_cndmask_b32_e64 v50, v46, v48, s[48:49]                  // 0000000066CC: D1000032 00C2612E
	v_cmp_u_f32_e64 s[48:49], v215, v215                       // 0000000066D4: D0480030 0003AFD7
	v_add3_u32 v46, v215, v49, 1                               // 0000000066DC: D1FF002E 020663D7
	v_cndmask_b32_e64 v51, v46, v48, s[48:49]                  // 0000000066E4: D1000033 00C2612E
	v_perm_b32 v203, v51, v50, s52                             // 0000000066EC: D1ED00CB 00D26533
	v_cmp_u_f32_e64 s[48:49], v216, v216                       // 0000000066F4: D0480030 0003B1D8
	v_add3_u32 v46, v216, v49, 1                               // 0000000066FC: D1FF002E 020663D8
	v_cndmask_b32_e64 v50, v46, v48, s[48:49]                  // 000000006704: D1000032 00C2612E
	v_cmp_u_f32_e64 s[48:49], v217, v217                       // 00000000670C: D0480030 0003B3D9
	v_add3_u32 v46, v217, v49, 1                               // 000000006714: D1FF002E 020663D9
	v_cndmask_b32_e64 v51, v46, v48, s[48:49]                  // 00000000671C: D1000033 00C2612E
	v_perm_b32 v204, v51, v50, s52                             // 000000006724: D1ED00CC 00D26533
	v_cmp_u_f32_e64 s[48:49], v218, v218                       // 00000000672C: D0480030 0003B5DA
	v_add3_u32 v46, v218, v49, 1                               // 000000006734: D1FF002E 020663DA
	v_cndmask_b32_e64 v50, v46, v48, s[48:49]                  // 00000000673C: D1000032 00C2612E
	v_cmp_u_f32_e64 s[48:49], v219, v219                       // 000000006744: D0480030 0003B7DB
	v_add3_u32 v46, v219, v49, 1                               // 00000000674C: D1FF002E 020663DB
	v_cndmask_b32_e64 v51, v46, v48, s[48:49]                  // 000000006754: D1000033 00C2612E
	v_perm_b32 v205, v51, v50, s52                             // 00000000675C: D1ED00CD 00D26533
	v_cmp_u_f32_e64 s[48:49], v220, v220                       // 000000006764: D0480030 0003B9DC
	v_add3_u32 v46, v220, v49, 1                               // 00000000676C: D1FF002E 020663DC
	v_cndmask_b32_e64 v50, v46, v48, s[48:49]                  // 000000006774: D1000032 00C2612E
	v_cmp_u_f32_e64 s[48:49], v221, v221                       // 00000000677C: D0480030 0003BBDD
	v_add3_u32 v46, v221, v49, 1                               // 000000006784: D1FF002E 020663DD
	v_cndmask_b32_e64 v51, v46, v48, s[48:49]                  // 00000000678C: D1000033 00C2612E
	v_perm_b32 v206, v51, v50, s52                             // 000000006794: D1ED00CE 00D26533
	v_cmp_u_f32_e64 s[48:49], v222, v222                       // 00000000679C: D0480030 0003BDDE
	v_add3_u32 v46, v222, v49, 1                               // 0000000067A4: D1FF002E 020663DE
	v_cndmask_b32_e64 v50, v46, v48, s[48:49]                  // 0000000067AC: D1000032 00C2612E
	v_cmp_u_f32_e64 s[48:49], v223, v223                       // 0000000067B4: D0480030 0003BFDF
	v_add3_u32 v46, v223, v49, 1                               // 0000000067BC: D1FF002E 020663DF
	v_cndmask_b32_e64 v51, v46, v48, s[48:49]                  // 0000000067C4: D1000033 00C2612E
	v_perm_b32 v207, v51, v50, s52                             // 0000000067CC: D1ED00CF 00D26533
	ds_write_b64 v3, v[192:193] offset:35072                   // 0000000067D4: D89A8900 0000C003
	ds_write_b64 v3, v[194:195] offset:43776                   // 0000000067DC: D89AAB00 0000C203
	ds_write_b64 v3, v[196:197] offset:37248                   // 0000000067E4: D89A9180 0000C403
	ds_write_b64 v3, v[198:199] offset:45952                   // 0000000067EC: D89AB380 0000C603
	ds_write_b64 v3, v[200:201] offset:39424                   // 0000000067F4: D89A9A00 0000C803
	ds_write_b64 v3, v[202:203] offset:48128                   // 0000000067FC: D89ABC00 0000CA03
	ds_write_b64 v3, v[204:205] offset:41600                   // 000000006804: D89AA280 0000CC03
	ds_write_b64 v3, v[206:207] offset:50304                   // 00000000680C: D89AC480 0000CE03
	s_waitcnt lgkmcnt(0)                                       // 000000006814: BF8CC07F
	s_barrier                                                  // 000000006818: BF8A0000
	ds_read_b32 v64, v4 offset:35072                           // 00000000681C: D86C8900 40000004
	ds_read_b32 v65, v4 offset:39424                           // 000000006824: D86C9A00 41000004
	ds_read_b32 v66, v4 offset:35104                           // 00000000682C: D86C8920 42000004
	ds_read_b32 v67, v4 offset:39456                           // 000000006834: D86C9A20 43000004
	ds_read_b32 v68, v4 offset:35136                           // 00000000683C: D86C8940 44000004
	ds_read_b32 v69, v4 offset:39488                           // 000000006844: D86C9A40 45000004
	ds_read_b32 v70, v4 offset:35168                           // 00000000684C: D86C8960 46000004
	ds_read_b32 v71, v4 offset:39520                           // 000000006854: D86C9A60 47000004
	ds_read_b32 v72, v4 offset:43776                           // 00000000685C: D86CAB00 48000004
	ds_read_b32 v73, v4 offset:48128                           // 000000006864: D86CBC00 49000004
	ds_read_b32 v74, v4 offset:43808                           // 00000000686C: D86CAB20 4A000004
	ds_read_b32 v75, v4 offset:48160                           // 000000006874: D86CBC20 4B000004
	ds_read_b32 v76, v4 offset:43840                           // 00000000687C: D86CAB40 4C000004
	ds_read_b32 v77, v4 offset:48192                           // 000000006884: D86CBC40 4D000004
	ds_read_b32 v78, v4 offset:43872                           // 00000000688C: D86CAB60 4E000004
	ds_read_b32 v79, v4 offset:48224                           // 000000006894: D86CBC60 4F000004
	s_waitcnt lgkmcnt(0)                                       // 00000000689C: BF8CC07F
	s_mov_b64 exec, s[20:21]                                   // 0000000068A0: BEFE0114
	global_atomic_pk_add_bf16 v80, v64, s[8:9]                 // 0000000068A4: DD488000 00084050
	s_mov_b64 exec, s[36:37]                                   // 0000000068AC: BEFE0124
	s_mov_b64 exec, s[20:21]                                   // 0000000068B0: BEFE0114
	global_atomic_pk_add_bf16 v80, v65, s[8:9] offset:256      // 0000000068B4: DD488100 00084150
	s_mov_b64 exec, s[36:37]                                   // 0000000068BC: BEFE0124
	s_mov_b64 exec, s[22:23]                                   // 0000000068C0: BEFE0116
	global_atomic_pk_add_bf16 v82, v66, s[8:9]                 // 0000000068C4: DD488000 00084252
	s_mov_b64 exec, s[36:37]                                   // 0000000068CC: BEFE0124
	s_mov_b64 exec, s[22:23]                                   // 0000000068D0: BEFE0116
	global_atomic_pk_add_bf16 v82, v67, s[8:9] offset:256      // 0000000068D4: DD488100 00084352
	s_mov_b64 exec, s[36:37]                                   // 0000000068DC: BEFE0124
	s_mov_b64 exec, s[24:25]                                   // 0000000068E0: BEFE0118
	global_atomic_pk_add_bf16 v84, v68, s[8:9]                 // 0000000068E4: DD488000 00084454
	s_mov_b64 exec, s[36:37]                                   // 0000000068EC: BEFE0124
	s_mov_b64 exec, s[24:25]                                   // 0000000068F0: BEFE0118
	global_atomic_pk_add_bf16 v84, v69, s[8:9] offset:256      // 0000000068F4: DD488100 00084554
	s_mov_b64 exec, s[36:37]                                   // 0000000068FC: BEFE0124
	s_mov_b64 exec, s[26:27]                                   // 000000006900: BEFE011A
	global_atomic_pk_add_bf16 v86, v70, s[8:9]                 // 000000006904: DD488000 00084656
	s_mov_b64 exec, s[36:37]                                   // 00000000690C: BEFE0124
	s_mov_b64 exec, s[26:27]                                   // 000000006910: BEFE011A
	global_atomic_pk_add_bf16 v86, v71, s[8:9] offset:256      // 000000006914: DD488100 00084756
	s_mov_b64 exec, s[36:37]                                   // 00000000691C: BEFE0124
	s_mov_b64 exec, s[28:29]                                   // 000000006920: BEFE011C
	global_atomic_pk_add_bf16 v88, v72, s[8:9]                 // 000000006924: DD488000 00084858
	s_mov_b64 exec, s[36:37]                                   // 00000000692C: BEFE0124
	s_mov_b64 exec, s[28:29]                                   // 000000006930: BEFE011C
	global_atomic_pk_add_bf16 v88, v73, s[8:9] offset:256      // 000000006934: DD488100 00084958
	s_mov_b64 exec, s[36:37]                                   // 00000000693C: BEFE0124
	s_mov_b64 exec, s[30:31]                                   // 000000006940: BEFE011E
	global_atomic_pk_add_bf16 v90, v74, s[8:9]                 // 000000006944: DD488000 00084A5A
	s_mov_b64 exec, s[36:37]                                   // 00000000694C: BEFE0124
	s_mov_b64 exec, s[30:31]                                   // 000000006950: BEFE011E
	global_atomic_pk_add_bf16 v90, v75, s[8:9] offset:256      // 000000006954: DD488100 00084B5A
	s_mov_b64 exec, s[36:37]                                   // 00000000695C: BEFE0124
	s_mov_b64 exec, s[32:33]                                   // 000000006960: BEFE0120
	global_atomic_pk_add_bf16 v92, v76, s[8:9]                 // 000000006964: DD488000 00084C5C
	s_mov_b64 exec, s[36:37]                                   // 00000000696C: BEFE0124
	s_mov_b64 exec, s[32:33]                                   // 000000006970: BEFE0120
	global_atomic_pk_add_bf16 v92, v77, s[8:9] offset:256      // 000000006974: DD488100 00084D5C
	s_mov_b64 exec, s[36:37]                                   // 00000000697C: BEFE0124
	s_mov_b64 exec, s[34:35]                                   // 000000006980: BEFE0122
	global_atomic_pk_add_bf16 v94, v78, s[8:9]                 // 000000006984: DD488000 00084E5E
	s_mov_b64 exec, s[36:37]                                   // 00000000698C: BEFE0124
	s_mov_b64 exec, s[34:35]                                   // 000000006990: BEFE0122
	global_atomic_pk_add_bf16 v94, v79, s[8:9] offset:256      // 000000006994: DD488100 00084F5E
	s_mov_b64 exec, s[36:37]                                   // 00000000699C: BEFE0124
	s_add_u32 s8, s59, s8                                      // 0000000069A0: 8008083B
	s_addc_u32 s9, 0, s9                                       // 0000000069A4: 82090980
	s_addk_i32 s80, 0x100                                      // 0000000069A8: B7500100
	s_cmp_lt_i32 s80, s81                                      // 0000000069AC: BF045150
	s_cbranch_scc0 label_1309                                  // 0000000069B0: BF84035C
	s_waitcnt vmcnt(45)                                        // 0000000069B4: BF8C8F7D
	s_barrier                                                  // 0000000069B8: BF8A0000
	v_mfma_i32_16x16x32_i8 v[224:227], a[128:129], v[128:129], 0// 0000000069BC: D3D700E0 0A030180
	v_mfma_i32_16x16x32_i8 v[224:227], a[130:131], v[130:131], v[224:227]// 0000000069C4: D3D700E0 0F830582
	buffer_load_dwordx4 a[0:3], v42, s[12:15], 0 offen         // 0000000069CC: E05C1000 8083002A
	v_mfma_i32_16x16x32_i8 v[228:231], a[128:129], v[160:161], 0// 0000000069D4: D3D700E4 0A034180
	v_mfma_i32_16x16x32_i8 v[228:231], a[130:131], v[162:163], v[228:231]// 0000000069DC: D3D700E4 0F934582
	v_mfma_i32_16x16x32_i8 v[232:235], a[132:133], v[128:129], 0// 0000000069E4: D3D700E8 0A030184
	v_mfma_i32_16x16x32_i8 v[232:235], a[134:135], v[130:131], v[232:235]// 0000000069EC: D3D700E8 0FA30586
	buffer_load_dwordx4 a[4:7], v43, s[12:15], 0 offen         // 0000000069F4: E05C1000 8083042B
	v_mfma_i32_16x16x32_i8 v[236:239], a[132:133], v[160:161], 0// 0000000069FC: D3D700EC 0A034184
	v_mfma_i32_16x16x32_i8 v[236:239], a[134:135], v[162:163], v[236:239]// 000000006A04: D3D700EC 0FB34586
	v_mfma_i32_16x16x32_i8 v[240:243], a[136:137], v[128:129], 0// 000000006A0C: D3D700F0 0A030188
	v_mfma_i32_16x16x32_i8 v[240:243], a[138:139], v[130:131], v[240:243]// 000000006A14: D3D700F0 0FC3058A
	buffer_load_dwordx4 a[8:11], v44, s[12:15], 0 offen        // 000000006A1C: E05C1000 8083082C
	v_mfma_i32_16x16x32_i8 v[244:247], a[136:137], v[160:161], 0// 000000006A24: D3D700F4 0A034188
	v_mfma_i32_16x16x32_i8 v[244:247], a[138:139], v[162:163], v[244:247]// 000000006A2C: D3D700F4 0FD3458A
	v_mfma_i32_16x16x32_i8 v[248:251], a[140:141], v[128:129], 0// 000000006A34: D3D700F8 0A03018C
	v_mfma_i32_16x16x32_i8 v[248:251], a[142:143], v[130:131], v[248:251]// 000000006A3C: D3D700F8 0FE3058E
	buffer_load_dwordx4 a[12:15], v45, s[12:15], 0 offen       // 000000006A44: E05C1000 80830C2D
	s_add_u32 s12, s78, s12                                    // 000000006A4C: 800C0C4E
	s_addc_u32 s13, 0, s13                                     // 000000006A50: 820D0D80
	v_mfma_i32_16x16x32_i8 v[252:255], a[140:141], v[160:161], 0// 000000006A54: D3D700FC 0A03418C
	v_mfma_i32_16x16x32_i8 v[252:255], a[142:143], v[162:163], v[252:255]// 000000006A5C: D3D700FC 0FF3458E
	s_waitcnt vmcnt(45)                                        // 000000006A64: BF8C8F7D
	v_mfma_i32_16x16x32_i8 v[224:227], a[144:145], v[132:133], v[224:227]// 000000006A68: D3D700E0 0F830990
	v_mfma_i32_16x16x32_i8 v[224:227], a[146:147], v[134:135], v[224:227]// 000000006A70: D3D700E0 0F830D92
	buffer_load_dwordx4 a[16:19], v42, s[12:15], 0 offen       // 000000006A78: E05C1000 8083102A
	v_mfma_i32_16x16x32_i8 v[228:231], a[144:145], v[164:165], v[228:231]// 000000006A80: D3D700E4 0F934990
	v_mfma_i32_16x16x32_i8 v[228:231], a[146:147], v[166:167], v[228:231]// 000000006A88: D3D700E4 0F934D92
	v_mfma_i32_16x16x32_i8 v[232:235], a[148:149], v[132:133], v[232:235]// 000000006A90: D3D700E8 0FA30994
	v_mfma_i32_16x16x32_i8 v[232:235], a[150:151], v[134:135], v[232:235]// 000000006A98: D3D700E8 0FA30D96
	buffer_load_dwordx4 a[20:23], v43, s[12:15], 0 offen       // 000000006AA0: E05C1000 8083142B
	v_mfma_i32_16x16x32_i8 v[236:239], a[148:149], v[164:165], v[236:239]// 000000006AA8: D3D700EC 0FB34994
	v_mfma_i32_16x16x32_i8 v[236:239], a[150:151], v[166:167], v[236:239]// 000000006AB0: D3D700EC 0FB34D96
	v_mfma_i32_16x16x32_i8 v[240:243], a[152:153], v[132:133], v[240:243]// 000000006AB8: D3D700F0 0FC30998
	v_mfma_i32_16x16x32_i8 v[240:243], a[154:155], v[134:135], v[240:243]// 000000006AC0: D3D700F0 0FC30D9A
	buffer_load_dwordx4 a[24:27], v44, s[12:15], 0 offen       // 000000006AC8: E05C1000 8083182C
	v_mfma_i32_16x16x32_i8 v[244:247], a[152:153], v[164:165], v[244:247]// 000000006AD0: D3D700F4 0FD34998
	v_mfma_i32_16x16x32_i8 v[244:247], a[154:155], v[166:167], v[244:247]// 000000006AD8: D3D700F4 0FD34D9A
	v_mfma_i32_16x16x32_i8 v[248:251], a[156:157], v[132:133], v[248:251]// 000000006AE0: D3D700F8 0FE3099C
	v_mfma_i32_16x16x32_i8 v[248:251], a[158:159], v[134:135], v[248:251]// 000000006AE8: D3D700F8 0FE30D9E
	buffer_load_dwordx4 a[28:31], v45, s[12:15], 0 offen       // 000000006AF0: E05C1000 80831C2D
	s_add_u32 s12, s78, s12                                    // 000000006AF8: 800C0C4E
	s_addc_u32 s13, 0, s13                                     // 000000006AFC: 820D0D80
	v_mfma_i32_16x16x32_i8 v[252:255], a[156:157], v[164:165], v[252:255]// 000000006B00: D3D700FC 0FF3499C
	v_mfma_i32_16x16x32_i8 v[252:255], a[158:159], v[166:167], v[252:255]// 000000006B08: D3D700FC 0FF34D9E
	s_waitcnt vmcnt(45)                                        // 000000006B10: BF8C8F7D
	v_mfma_i32_16x16x32_i8 v[224:227], a[160:161], v[136:137], v[224:227]// 000000006B14: D3D700E0 0F8311A0
	v_mfma_i32_16x16x32_i8 v[224:227], a[162:163], v[138:139], v[224:227]// 000000006B1C: D3D700E0 0F8315A2
	buffer_load_dwordx4 a[32:35], v42, s[12:15], 0 offen       // 000000006B24: E05C1000 8083202A
	v_mfma_i32_16x16x32_i8 v[228:231], a[160:161], v[168:169], v[228:231]// 000000006B2C: D3D700E4 0F9351A0
	v_mfma_i32_16x16x32_i8 v[228:231], a[162:163], v[170:171], v[228:231]// 000000006B34: D3D700E4 0F9355A2
	v_mfma_i32_16x16x32_i8 v[232:235], a[164:165], v[136:137], v[232:235]// 000000006B3C: D3D700E8 0FA311A4
	v_mfma_i32_16x16x32_i8 v[232:235], a[166:167], v[138:139], v[232:235]// 000000006B44: D3D700E8 0FA315A6
	buffer_load_dwordx4 a[36:39], v43, s[12:15], 0 offen       // 000000006B4C: E05C1000 8083242B
	v_mfma_i32_16x16x32_i8 v[236:239], a[164:165], v[168:169], v[236:239]// 000000006B54: D3D700EC 0FB351A4
	v_mfma_i32_16x16x32_i8 v[236:239], a[166:167], v[170:171], v[236:239]// 000000006B5C: D3D700EC 0FB355A6
	v_mfma_i32_16x16x32_i8 v[240:243], a[168:169], v[136:137], v[240:243]// 000000006B64: D3D700F0 0FC311A8
	v_mfma_i32_16x16x32_i8 v[240:243], a[170:171], v[138:139], v[240:243]// 000000006B6C: D3D700F0 0FC315AA
	buffer_load_dwordx4 a[40:43], v44, s[12:15], 0 offen       // 000000006B74: E05C1000 8083282C
	v_mfma_i32_16x16x32_i8 v[244:247], a[168:169], v[168:169], v[244:247]// 000000006B7C: D3D700F4 0FD351A8
	v_mfma_i32_16x16x32_i8 v[244:247], a[170:171], v[170:171], v[244:247]// 000000006B84: D3D700F4 0FD355AA
	v_mfma_i32_16x16x32_i8 v[248:251], a[172:173], v[136:137], v[248:251]// 000000006B8C: D3D700F8 0FE311AC
	v_mfma_i32_16x16x32_i8 v[248:251], a[174:175], v[138:139], v[248:251]// 000000006B94: D3D700F8 0FE315AE
	buffer_load_dwordx4 a[44:47], v45, s[12:15], 0 offen       // 000000006B9C: E05C1000 80832C2D
	s_add_u32 s12, s78, s12                                    // 000000006BA4: 800C0C4E
	s_addc_u32 s13, 0, s13                                     // 000000006BA8: 820D0D80
	v_mfma_i32_16x16x32_i8 v[252:255], a[172:173], v[168:169], v[252:255]// 000000006BAC: D3D700FC 0FF351AC
	v_mfma_i32_16x16x32_i8 v[252:255], a[174:175], v[170:171], v[252:255]// 000000006BB4: D3D700FC 0FF355AE
	s_waitcnt vmcnt(45)                                        // 000000006BBC: BF8C8F7D
	v_mfma_i32_16x16x32_i8 v[224:227], a[176:177], v[140:141], v[224:227]// 000000006BC0: D3D700E0 0F8319B0
	v_mfma_i32_16x16x32_i8 v[224:227], a[178:179], v[142:143], v[224:227]// 000000006BC8: D3D700E0 0F831DB2
	buffer_load_dwordx4 a[48:51], v42, s[12:15], 0 offen       // 000000006BD0: E05C1000 8083302A
	v_mfma_i32_16x16x32_i8 v[228:231], a[176:177], v[172:173], v[228:231]// 000000006BD8: D3D700E4 0F9359B0
	v_mfma_i32_16x16x32_i8 v[228:231], a[178:179], v[174:175], v[228:231]// 000000006BE0: D3D700E4 0F935DB2
	v_mfma_i32_16x16x32_i8 v[232:235], a[180:181], v[140:141], v[232:235]// 000000006BE8: D3D700E8 0FA319B4
	v_mfma_i32_16x16x32_i8 v[232:235], a[182:183], v[142:143], v[232:235]// 000000006BF0: D3D700E8 0FA31DB6
	buffer_load_dwordx4 a[52:55], v43, s[12:15], 0 offen       // 000000006BF8: E05C1000 8083342B
	v_mfma_i32_16x16x32_i8 v[236:239], a[180:181], v[172:173], v[236:239]// 000000006C00: D3D700EC 0FB359B4
	v_mfma_i32_16x16x32_i8 v[236:239], a[182:183], v[174:175], v[236:239]// 000000006C08: D3D700EC 0FB35DB6
	v_mfma_i32_16x16x32_i8 v[240:243], a[184:185], v[140:141], v[240:243]// 000000006C10: D3D700F0 0FC319B8
	v_mfma_i32_16x16x32_i8 v[240:243], a[186:187], v[142:143], v[240:243]// 000000006C18: D3D700F0 0FC31DBA
	buffer_load_dwordx4 a[56:59], v44, s[12:15], 0 offen       // 000000006C20: E05C1000 8083382C
	v_mfma_i32_16x16x32_i8 v[244:247], a[184:185], v[172:173], v[244:247]// 000000006C28: D3D700F4 0FD359B8
	v_mfma_i32_16x16x32_i8 v[244:247], a[186:187], v[174:175], v[244:247]// 000000006C30: D3D700F4 0FD35DBA
	v_mfma_i32_16x16x32_i8 v[248:251], a[188:189], v[140:141], v[248:251]// 000000006C38: D3D700F8 0FE319BC
	v_mfma_i32_16x16x32_i8 v[248:251], a[190:191], v[142:143], v[248:251]// 000000006C40: D3D700F8 0FE31DBE
	buffer_load_dwordx4 a[60:63], v45, s[12:15], 0 offen       // 000000006C48: E05C1000 80833C2D
	s_add_u32 s12, s78, s12                                    // 000000006C50: 800C0C4E
	s_addc_u32 s13, 0, s13                                     // 000000006C54: 820D0D80
	v_mfma_i32_16x16x32_i8 v[252:255], a[188:189], v[172:173], v[252:255]// 000000006C58: D3D700FC 0FF359BC
	v_mfma_i32_16x16x32_i8 v[252:255], a[190:191], v[174:175], v[252:255]// 000000006C60: D3D700FC 0FF35DBE
	s_waitcnt vmcnt(45)                                        // 000000006C68: BF8C8F7D
	v_mfma_i32_16x16x32_i8 v[224:227], a[192:193], v[144:145], v[224:227]// 000000006C6C: D3D700E0 0F8321C0
	v_mfma_i32_16x16x32_i8 v[224:227], a[194:195], v[146:147], v[224:227]// 000000006C74: D3D700E0 0F8325C2
	buffer_load_dwordx4 a[64:67], v42, s[12:15], 0 offen       // 000000006C7C: E05C1000 8083402A
	v_mfma_i32_16x16x32_i8 v[228:231], a[192:193], v[176:177], v[228:231]// 000000006C84: D3D700E4 0F9361C0
	v_mfma_i32_16x16x32_i8 v[228:231], a[194:195], v[178:179], v[228:231]// 000000006C8C: D3D700E4 0F9365C2
	v_mfma_i32_16x16x32_i8 v[232:235], a[196:197], v[144:145], v[232:235]// 000000006C94: D3D700E8 0FA321C4
	v_mfma_i32_16x16x32_i8 v[232:235], a[198:199], v[146:147], v[232:235]// 000000006C9C: D3D700E8 0FA325C6
	buffer_load_dwordx4 a[68:71], v43, s[12:15], 0 offen       // 000000006CA4: E05C1000 8083442B
	v_mfma_i32_16x16x32_i8 v[236:239], a[196:197], v[176:177], v[236:239]// 000000006CAC: D3D700EC 0FB361C4
	v_mfma_i32_16x16x32_i8 v[236:239], a[198:199], v[178:179], v[236:239]// 000000006CB4: D3D700EC 0FB365C6
	v_mfma_i32_16x16x32_i8 v[240:243], a[200:201], v[144:145], v[240:243]// 000000006CBC: D3D700F0 0FC321C8
	v_mfma_i32_16x16x32_i8 v[240:243], a[202:203], v[146:147], v[240:243]// 000000006CC4: D3D700F0 0FC325CA
	buffer_load_dwordx4 a[72:75], v44, s[12:15], 0 offen       // 000000006CCC: E05C1000 8083482C
	v_mfma_i32_16x16x32_i8 v[244:247], a[200:201], v[176:177], v[244:247]// 000000006CD4: D3D700F4 0FD361C8
	v_mfma_i32_16x16x32_i8 v[244:247], a[202:203], v[178:179], v[244:247]// 000000006CDC: D3D700F4 0FD365CA
	v_mfma_i32_16x16x32_i8 v[248:251], a[204:205], v[144:145], v[248:251]// 000000006CE4: D3D700F8 0FE321CC
	v_mfma_i32_16x16x32_i8 v[248:251], a[206:207], v[146:147], v[248:251]// 000000006CEC: D3D700F8 0FE325CE
	buffer_load_dwordx4 a[76:79], v45, s[12:15], 0 offen       // 000000006CF4: E05C1000 80834C2D
	s_add_u32 s12, s78, s12                                    // 000000006CFC: 800C0C4E
	s_addc_u32 s13, 0, s13                                     // 000000006D00: 820D0D80
	v_mfma_i32_16x16x32_i8 v[252:255], a[204:205], v[176:177], v[252:255]// 000000006D04: D3D700FC 0FF361CC
	v_mfma_i32_16x16x32_i8 v[252:255], a[206:207], v[178:179], v[252:255]// 000000006D0C: D3D700FC 0FF365CE
	s_waitcnt vmcnt(45)                                        // 000000006D14: BF8C8F7D
	v_mfma_i32_16x16x32_i8 v[224:227], a[208:209], v[148:149], v[224:227]// 000000006D18: D3D700E0 0F8329D0
	v_mfma_i32_16x16x32_i8 v[224:227], a[210:211], v[150:151], v[224:227]// 000000006D20: D3D700E0 0F832DD2
	buffer_load_dwordx4 a[80:83], v42, s[12:15], 0 offen       // 000000006D28: E05C1000 8083502A
	v_mfma_i32_16x16x32_i8 v[228:231], a[208:209], v[180:181], v[228:231]// 000000006D30: D3D700E4 0F9369D0
	v_mfma_i32_16x16x32_i8 v[228:231], a[210:211], v[182:183], v[228:231]// 000000006D38: D3D700E4 0F936DD2
	v_mfma_i32_16x16x32_i8 v[232:235], a[212:213], v[148:149], v[232:235]// 000000006D40: D3D700E8 0FA329D4
	v_mfma_i32_16x16x32_i8 v[232:235], a[214:215], v[150:151], v[232:235]// 000000006D48: D3D700E8 0FA32DD6
	buffer_load_dwordx4 a[84:87], v43, s[12:15], 0 offen       // 000000006D50: E05C1000 8083542B
	v_mfma_i32_16x16x32_i8 v[236:239], a[212:213], v[180:181], v[236:239]// 000000006D58: D3D700EC 0FB369D4
	v_mfma_i32_16x16x32_i8 v[236:239], a[214:215], v[182:183], v[236:239]// 000000006D60: D3D700EC 0FB36DD6
	v_mfma_i32_16x16x32_i8 v[240:243], a[216:217], v[148:149], v[240:243]// 000000006D68: D3D700F0 0FC329D8
	v_mfma_i32_16x16x32_i8 v[240:243], a[218:219], v[150:151], v[240:243]// 000000006D70: D3D700F0 0FC32DDA
	buffer_load_dwordx4 a[88:91], v44, s[12:15], 0 offen       // 000000006D78: E05C1000 8083582C
	v_mfma_i32_16x16x32_i8 v[244:247], a[216:217], v[180:181], v[244:247]// 000000006D80: D3D700F4 0FD369D8
	v_mfma_i32_16x16x32_i8 v[244:247], a[218:219], v[182:183], v[244:247]// 000000006D88: D3D700F4 0FD36DDA
	v_mfma_i32_16x16x32_i8 v[248:251], a[220:221], v[148:149], v[248:251]// 000000006D90: D3D700F8 0FE329DC
	v_mfma_i32_16x16x32_i8 v[248:251], a[222:223], v[150:151], v[248:251]// 000000006D98: D3D700F8 0FE32DDE
	buffer_load_dwordx4 a[92:95], v45, s[12:15], 0 offen       // 000000006DA0: E05C1000 80835C2D
	s_add_u32 s12, s78, s12                                    // 000000006DA8: 800C0C4E
	s_addc_u32 s13, 0, s13                                     // 000000006DAC: 820D0D80
	v_mfma_i32_16x16x32_i8 v[252:255], a[220:221], v[180:181], v[252:255]// 000000006DB0: D3D700FC 0FF369DC
	v_mfma_i32_16x16x32_i8 v[252:255], a[222:223], v[182:183], v[252:255]// 000000006DB8: D3D700FC 0FF36DDE
	s_waitcnt vmcnt(45)                                        // 000000006DC0: BF8C8F7D
	v_mfma_i32_16x16x32_i8 v[224:227], a[224:225], v[152:153], v[224:227]// 000000006DC4: D3D700E0 0F8331E0
	v_mfma_i32_16x16x32_i8 v[224:227], a[226:227], v[154:155], v[224:227]// 000000006DCC: D3D700E0 0F8335E2
	buffer_load_dwordx4 a[96:99], v42, s[12:15], 0 offen       // 000000006DD4: E05C1000 8083602A
	v_mfma_i32_16x16x32_i8 v[228:231], a[224:225], v[184:185], v[228:231]// 000000006DDC: D3D700E4 0F9371E0
	v_mfma_i32_16x16x32_i8 v[228:231], a[226:227], v[186:187], v[228:231]// 000000006DE4: D3D700E4 0F9375E2
	v_mfma_i32_16x16x32_i8 v[232:235], a[228:229], v[152:153], v[232:235]// 000000006DEC: D3D700E8 0FA331E4
	v_mfma_i32_16x16x32_i8 v[232:235], a[230:231], v[154:155], v[232:235]// 000000006DF4: D3D700E8 0FA335E6
	buffer_load_dwordx4 a[100:103], v43, s[12:15], 0 offen     // 000000006DFC: E05C1000 8083642B
	v_mfma_i32_16x16x32_i8 v[236:239], a[228:229], v[184:185], v[236:239]// 000000006E04: D3D700EC 0FB371E4
	v_mfma_i32_16x16x32_i8 v[236:239], a[230:231], v[186:187], v[236:239]// 000000006E0C: D3D700EC 0FB375E6
	v_mfma_i32_16x16x32_i8 v[240:243], a[232:233], v[152:153], v[240:243]// 000000006E14: D3D700F0 0FC331E8
	v_mfma_i32_16x16x32_i8 v[240:243], a[234:235], v[154:155], v[240:243]// 000000006E1C: D3D700F0 0FC335EA
	buffer_load_dwordx4 a[104:107], v44, s[12:15], 0 offen     // 000000006E24: E05C1000 8083682C
	v_mfma_i32_16x16x32_i8 v[244:247], a[232:233], v[184:185], v[244:247]// 000000006E2C: D3D700F4 0FD371E8
	v_mfma_i32_16x16x32_i8 v[244:247], a[234:235], v[186:187], v[244:247]// 000000006E34: D3D700F4 0FD375EA
	v_mfma_i32_16x16x32_i8 v[248:251], a[236:237], v[152:153], v[248:251]// 000000006E3C: D3D700F8 0FE331EC
	v_mfma_i32_16x16x32_i8 v[248:251], a[238:239], v[154:155], v[248:251]// 000000006E44: D3D700F8 0FE335EE
	buffer_load_dwordx4 a[108:111], v45, s[12:15], 0 offen     // 000000006E4C: E05C1000 80836C2D
	s_add_u32 s12, s78, s12                                    // 000000006E54: 800C0C4E
	s_addc_u32 s13, 0, s13                                     // 000000006E58: 820D0D80
	v_mfma_i32_16x16x32_i8 v[252:255], a[236:237], v[184:185], v[252:255]// 000000006E5C: D3D700FC 0FF371EC
	v_mfma_i32_16x16x32_i8 v[252:255], a[238:239], v[186:187], v[252:255]// 000000006E64: D3D700FC 0FF375EE
	s_waitcnt vmcnt(44)                                        // 000000006E6C: BF8C8F7C
	v_mfma_i32_16x16x32_i8 v[224:227], a[240:241], v[156:157], v[224:227]// 000000006E70: D3D700E0 0F8339F0
	v_mfma_i32_16x16x32_i8 v[224:227], a[242:243], v[158:159], v[224:227]// 000000006E78: D3D700E0 0F833DF2
	buffer_load_dwordx4 a[112:115], v42, s[12:15], 0 offen     // 000000006E80: E05C1000 8083702A
	v_mfma_i32_16x16x32_i8 v[228:231], a[240:241], v[188:189], v[228:231]// 000000006E88: D3D700E4 0F9379F0
	v_mfma_i32_16x16x32_i8 v[228:231], a[242:243], v[190:191], v[228:231]// 000000006E90: D3D700E4 0F937DF2
	buffer_load_dword v12, v5, s[16:19], 0 offen               // 000000006E98: E0501000 80040C05
	v_mfma_i32_16x16x32_i8 v[232:235], a[244:245], v[156:157], v[232:235]// 000000006EA0: D3D700E8 0FA339F4
	v_mfma_i32_16x16x32_i8 v[232:235], a[246:247], v[158:159], v[232:235]// 000000006EA8: D3D700E8 0FA33DF6
	buffer_load_dwordx4 a[116:119], v43, s[12:15], 0 offen     // 000000006EB0: E05C1000 8083742B
	v_mfma_i32_16x16x32_i8 v[236:239], a[244:245], v[188:189], v[236:239]// 000000006EB8: D3D700EC 0FB379F4
	v_mfma_i32_16x16x32_i8 v[236:239], a[246:247], v[190:191], v[236:239]// 000000006EC0: D3D700EC 0FB37DF6
	v_mfma_i32_16x16x32_i8 v[240:243], a[248:249], v[156:157], v[240:243]// 000000006EC8: D3D700F0 0FC339F8
	v_mfma_i32_16x16x32_i8 v[240:243], a[250:251], v[158:159], v[240:243]// 000000006ED0: D3D700F0 0FC33DFA
	buffer_load_dwordx4 a[120:123], v44, s[12:15], 0 offen     // 000000006ED8: E05C1000 8083782C
	v_mfma_i32_16x16x32_i8 v[244:247], a[248:249], v[188:189], v[244:247]// 000000006EE0: D3D700F4 0FD379F8
	v_mfma_i32_16x16x32_i8 v[244:247], a[250:251], v[190:191], v[244:247]// 000000006EE8: D3D700F4 0FD37DFA
	v_mfma_i32_16x16x32_i8 v[248:251], a[252:253], v[156:157], v[248:251]// 000000006EF0: D3D700F8 0FE339FC
	v_mfma_i32_16x16x32_i8 v[248:251], a[254:255], v[158:159], v[248:251]// 000000006EF8: D3D700F8 0FE33DFE
	buffer_load_dwordx4 a[124:127], v45, s[12:15], 0 offen     // 000000006F00: E05C1000 80837C2D
	v_mfma_i32_16x16x32_i8 v[252:255], a[252:253], v[188:189], v[252:255]// 000000006F08: D3D700FC 0FF379FC
	v_mfma_i32_16x16x32_i8 v[252:255], a[254:255], v[190:191], v[252:255]// 000000006F10: D3D700FC 0FF37DFE
	s_add_u32 s60, 0x200, s80                                  // 000000006F18: 803C50FF 00000200
	s_cmp_lt_u32 s60, s81                                      // 000000006F20: BF0A513C
	s_cselect_b32 s56, s56, 0                                  // 000000006F24: 85388038
	s_cselect_b32 s78, s78, 0                                  // 000000006F28: 854E804E
	s_cselect_b32 s79, s79, 0                                  // 000000006F2C: 854F804F
	s_add_u32 s12, s56, s12                                    // 000000006F30: 800C0C38
	s_addc_u32 s13, 0, s13                                     // 000000006F34: 820D0D80
	s_add_u32 s16, s79, s16                                    // 000000006F38: 8010104F
	s_addc_u32 s17, 0, s17                                     // 000000006F3C: 82111180
	v_cvt_f32_i32_e32 v224, v224                               // 000000006F40: 7FC00BE0
	v_cvt_f32_i32_e32 v225, v225                               // 000000006F44: 7FC20BE1
	v_cvt_f32_i32_e32 v226, v226                               // 000000006F48: 7FC40BE2
	v_cvt_f32_i32_e32 v227, v227                               // 000000006F4C: 7FC60BE3
	v_mul_f32_e32 v224, v24, v224                              // 000000006F50: 0BC1C118
	v_mul_f32_e32 v225, v24, v225                              // 000000006F54: 0BC3C318
	v_mul_f32_e32 v226, v24, v226                              // 000000006F58: 0BC5C518
	v_mul_f32_e32 v227, v24, v227                              // 000000006F5C: 0BC7C718
	v_mul_f32_dpp v224, v13, v224 row_newbcast:0 row_mask:0xf bank_mask:0xf// 000000006F60: 0BC1C0FA FF01500D
	v_mul_f32_dpp v225, v13, v225 row_newbcast:1 row_mask:0xf bank_mask:0xf// 000000006F68: 0BC3C2FA FF01510D
	v_mul_f32_dpp v226, v13, v226 row_newbcast:2 row_mask:0xf bank_mask:0xf// 000000006F70: 0BC5C4FA FF01520D
	v_mul_f32_dpp v227, v13, v227 row_newbcast:3 row_mask:0xf bank_mask:0xf// 000000006F78: 0BC7C6FA FF01530D
	v_mul_f32_e32 v224, v20, v224                              // 000000006F80: 0BC1C114
	v_mul_f32_e32 v225, v20, v225                              // 000000006F84: 0BC3C314
	v_mul_f32_e32 v226, v20, v226                              // 000000006F88: 0BC5C514
	v_mul_f32_e32 v227, v20, v227                              // 000000006F8C: 0BC7C714
	v_cvt_f32_i32_e32 v228, v228                               // 000000006F90: 7FC80BE4
	v_cvt_f32_i32_e32 v229, v229                               // 000000006F94: 7FCA0BE5
	v_cvt_f32_i32_e32 v230, v230                               // 000000006F98: 7FCC0BE6
	v_cvt_f32_i32_e32 v231, v231                               // 000000006F9C: 7FCE0BE7
	v_mul_f32_e32 v228, v25, v228                              // 000000006FA0: 0BC9C919
	v_mul_f32_e32 v229, v25, v229                              // 000000006FA4: 0BCBCB19
	v_mul_f32_e32 v230, v25, v230                              // 000000006FA8: 0BCDCD19
	v_mul_f32_e32 v231, v25, v231                              // 000000006FAC: 0BCFCF19
	v_mul_f32_dpp v228, v13, v228 row_newbcast:0 row_mask:0xf bank_mask:0xf// 000000006FB0: 0BC9C8FA FF01500D
	v_mul_f32_dpp v229, v13, v229 row_newbcast:1 row_mask:0xf bank_mask:0xf// 000000006FB8: 0BCBCAFA FF01510D
	v_mul_f32_dpp v230, v13, v230 row_newbcast:2 row_mask:0xf bank_mask:0xf// 000000006FC0: 0BCDCCFA FF01520D
	v_mul_f32_dpp v231, v13, v231 row_newbcast:3 row_mask:0xf bank_mask:0xf// 000000006FC8: 0BCFCEFA FF01530D
	v_mul_f32_e32 v228, v21, v228                              // 000000006FD0: 0BC9C915
	v_mul_f32_e32 v229, v21, v229                              // 000000006FD4: 0BCBCB15
	v_mul_f32_e32 v230, v21, v230                              // 000000006FD8: 0BCDCD15
	v_mul_f32_e32 v231, v21, v231                              // 000000006FDC: 0BCFCF15
	v_cvt_f32_i32_e32 v232, v232                               // 000000006FE0: 7FD00BE8
	v_cvt_f32_i32_e32 v233, v233                               // 000000006FE4: 7FD20BE9
	v_cvt_f32_i32_e32 v234, v234                               // 000000006FE8: 7FD40BEA
	v_cvt_f32_i32_e32 v235, v235                               // 000000006FEC: 7FD60BEB
	v_mul_f32_e32 v232, v24, v232                              // 000000006FF0: 0BD1D118
	v_mul_f32_e32 v233, v24, v233                              // 000000006FF4: 0BD3D318
	v_mul_f32_e32 v234, v24, v234                              // 000000006FF8: 0BD5D518
	v_mul_f32_e32 v235, v24, v235                              // 000000006FFC: 0BD7D718
	v_mul_f32_dpp v232, v13, v232 row_newbcast:4 row_mask:0xf bank_mask:0xf// 000000007000: 0BD1D0FA FF01540D
	v_mul_f32_dpp v233, v13, v233 row_newbcast:5 row_mask:0xf bank_mask:0xf// 000000007008: 0BD3D2FA FF01550D
	v_mul_f32_dpp v234, v13, v234 row_newbcast:6 row_mask:0xf bank_mask:0xf// 000000007010: 0BD5D4FA FF01560D
	v_mul_f32_dpp v235, v13, v235 row_newbcast:7 row_mask:0xf bank_mask:0xf// 000000007018: 0BD7D6FA FF01570D
	v_mul_f32_e32 v232, v20, v232                              // 000000007020: 0BD1D114
	v_mul_f32_e32 v233, v20, v233                              // 000000007024: 0BD3D314
	v_mul_f32_e32 v234, v20, v234                              // 000000007028: 0BD5D514
	v_mul_f32_e32 v235, v20, v235                              // 00000000702C: 0BD7D714
	v_cvt_f32_i32_e32 v236, v236                               // 000000007030: 7FD80BEC
	v_cvt_f32_i32_e32 v237, v237                               // 000000007034: 7FDA0BED
	v_cvt_f32_i32_e32 v238, v238                               // 000000007038: 7FDC0BEE
	v_cvt_f32_i32_e32 v239, v239                               // 00000000703C: 7FDE0BEF
	v_mul_f32_e32 v236, v25, v236                              // 000000007040: 0BD9D919
	v_mul_f32_e32 v237, v25, v237                              // 000000007044: 0BDBDB19
	v_mul_f32_e32 v238, v25, v238                              // 000000007048: 0BDDDD19
	v_mul_f32_e32 v239, v25, v239                              // 00000000704C: 0BDFDF19
	v_mul_f32_dpp v236, v13, v236 row_newbcast:4 row_mask:0xf bank_mask:0xf// 000000007050: 0BD9D8FA FF01540D
	v_mul_f32_dpp v237, v13, v237 row_newbcast:5 row_mask:0xf bank_mask:0xf// 000000007058: 0BDBDAFA FF01550D
	v_mul_f32_dpp v238, v13, v238 row_newbcast:6 row_mask:0xf bank_mask:0xf// 000000007060: 0BDDDCFA FF01560D
	v_mul_f32_dpp v239, v13, v239 row_newbcast:7 row_mask:0xf bank_mask:0xf// 000000007068: 0BDFDEFA FF01570D
	v_mul_f32_e32 v236, v21, v236                              // 000000007070: 0BD9D915
	v_mul_f32_e32 v237, v21, v237                              // 000000007074: 0BDBDB15
	v_mul_f32_e32 v238, v21, v238                              // 000000007078: 0BDDDD15
	v_mul_f32_e32 v239, v21, v239                              // 00000000707C: 0BDFDF15
	v_cvt_f32_i32_e32 v240, v240                               // 000000007080: 7FE00BF0
	v_cvt_f32_i32_e32 v241, v241                               // 000000007084: 7FE20BF1
	v_cvt_f32_i32_e32 v242, v242                               // 000000007088: 7FE40BF2
	v_cvt_f32_i32_e32 v243, v243                               // 00000000708C: 7FE60BF3
	v_mul_f32_e32 v240, v24, v240                              // 000000007090: 0BE1E118
	v_mul_f32_e32 v241, v24, v241                              // 000000007094: 0BE3E318
	v_mul_f32_e32 v242, v24, v242                              // 000000007098: 0BE5E518
	v_mul_f32_e32 v243, v24, v243                              // 00000000709C: 0BE7E718
	v_mul_f32_dpp v240, v13, v240 row_newbcast:8 row_mask:0xf bank_mask:0xf// 0000000070A0: 0BE1E0FA FF01580D
	v_mul_f32_dpp v241, v13, v241 row_newbcast:9 row_mask:0xf bank_mask:0xf// 0000000070A8: 0BE3E2FA FF01590D
	v_mul_f32_dpp v242, v13, v242 row_newbcast:10 row_mask:0xf bank_mask:0xf// 0000000070B0: 0BE5E4FA FF015A0D
	v_mul_f32_dpp v243, v13, v243 row_newbcast:11 row_mask:0xf bank_mask:0xf// 0000000070B8: 0BE7E6FA FF015B0D
	v_mul_f32_e32 v240, v20, v240                              // 0000000070C0: 0BE1E114
	v_mul_f32_e32 v241, v20, v241                              // 0000000070C4: 0BE3E314
	v_mul_f32_e32 v242, v20, v242                              // 0000000070C8: 0BE5E514
	v_mul_f32_e32 v243, v20, v243                              // 0000000070CC: 0BE7E714
	v_cvt_f32_i32_e32 v244, v244                               // 0000000070D0: 7FE80BF4
	v_cvt_f32_i32_e32 v245, v245                               // 0000000070D4: 7FEA0BF5
	v_cvt_f32_i32_e32 v246, v246                               // 0000000070D8: 7FEC0BF6
	v_cvt_f32_i32_e32 v247, v247                               // 0000000070DC: 7FEE0BF7
	v_mul_f32_e32 v244, v25, v244                              // 0000000070E0: 0BE9E919
	v_mul_f32_e32 v245, v25, v245                              // 0000000070E4: 0BEBEB19
	v_mul_f32_e32 v246, v25, v246                              // 0000000070E8: 0BEDED19
	v_mul_f32_e32 v247, v25, v247                              // 0000000070EC: 0BEFEF19
	v_mul_f32_dpp v244, v13, v244 row_newbcast:8 row_mask:0xf bank_mask:0xf// 0000000070F0: 0BE9E8FA FF01580D
	v_mul_f32_dpp v245, v13, v245 row_newbcast:9 row_mask:0xf bank_mask:0xf// 0000000070F8: 0BEBEAFA FF01590D
	v_mul_f32_dpp v246, v13, v246 row_newbcast:10 row_mask:0xf bank_mask:0xf// 000000007100: 0BEDECFA FF015A0D
	v_mul_f32_dpp v247, v13, v247 row_newbcast:11 row_mask:0xf bank_mask:0xf// 000000007108: 0BEFEEFA FF015B0D
	v_mul_f32_e32 v244, v21, v244                              // 000000007110: 0BE9E915
	v_mul_f32_e32 v245, v21, v245                              // 000000007114: 0BEBEB15
	v_mul_f32_e32 v246, v21, v246                              // 000000007118: 0BEDED15
	v_mul_f32_e32 v247, v21, v247                              // 00000000711C: 0BEFEF15
	v_cvt_f32_i32_e32 v248, v248                               // 000000007120: 7FF00BF8
	v_cvt_f32_i32_e32 v249, v249                               // 000000007124: 7FF20BF9
	v_cvt_f32_i32_e32 v250, v250                               // 000000007128: 7FF40BFA
	v_cvt_f32_i32_e32 v251, v251                               // 00000000712C: 7FF60BFB
	v_mul_f32_e32 v248, v24, v248                              // 000000007130: 0BF1F118
	v_mul_f32_e32 v249, v24, v249                              // 000000007134: 0BF3F318
	v_mul_f32_e32 v250, v24, v250                              // 000000007138: 0BF5F518
	v_mul_f32_e32 v251, v24, v251                              // 00000000713C: 0BF7F718
	v_mul_f32_dpp v248, v13, v248 row_newbcast:12 row_mask:0xf bank_mask:0xf// 000000007140: 0BF1F0FA FF015C0D
	v_mul_f32_dpp v249, v13, v249 row_newbcast:13 row_mask:0xf bank_mask:0xf// 000000007148: 0BF3F2FA FF015D0D
	v_mul_f32_dpp v250, v13, v250 row_newbcast:14 row_mask:0xf bank_mask:0xf// 000000007150: 0BF5F4FA FF015E0D
	v_mul_f32_dpp v251, v13, v251 row_newbcast:15 row_mask:0xf bank_mask:0xf// 000000007158: 0BF7F6FA FF015F0D
	v_mul_f32_e32 v248, v20, v248                              // 000000007160: 0BF1F114
	v_mul_f32_e32 v249, v20, v249                              // 000000007164: 0BF3F314
	v_mul_f32_e32 v250, v20, v250                              // 000000007168: 0BF5F514
	v_mul_f32_e32 v251, v20, v251                              // 00000000716C: 0BF7F714
	v_cvt_f32_i32_e32 v252, v252                               // 000000007170: 7FF80BFC
	v_cvt_f32_i32_e32 v253, v253                               // 000000007174: 7FFA0BFD
	v_cvt_f32_i32_e32 v254, v254                               // 000000007178: 7FFC0BFE
	v_cvt_f32_i32_e32 v255, v255                               // 00000000717C: 7FFE0BFF
	v_mul_f32_e32 v252, v25, v252                              // 000000007180: 0BF9F919
	v_mul_f32_e32 v253, v25, v253                              // 000000007184: 0BFBFB19
	v_mul_f32_e32 v254, v25, v254                              // 000000007188: 0BFDFD19
	v_mul_f32_e32 v255, v25, v255                              // 00000000718C: 0BFFFF19
	v_mul_f32_dpp v252, v13, v252 row_newbcast:12 row_mask:0xf bank_mask:0xf// 000000007190: 0BF9F8FA FF015C0D
	v_mul_f32_dpp v253, v13, v253 row_newbcast:13 row_mask:0xf bank_mask:0xf// 000000007198: 0BFBFAFA FF015D0D
	v_mul_f32_dpp v254, v13, v254 row_newbcast:14 row_mask:0xf bank_mask:0xf// 0000000071A0: 0BFDFCFA FF015E0D
	v_mul_f32_dpp v255, v13, v255 row_newbcast:15 row_mask:0xf bank_mask:0xf// 0000000071A8: 0BFFFEFA FF015F0D
	v_mul_f32_e32 v252, v21, v252                              // 0000000071B0: 0BF9F915
	v_mul_f32_e32 v253, v21, v253                              // 0000000071B4: 0BFBFB15
	v_mul_f32_e32 v254, v21, v254                              // 0000000071B8: 0BFDFD15
	v_mul_f32_e32 v255, v21, v255                              // 0000000071BC: 0BFFFF15
	v_cmp_u_f32_e64 s[48:49], v224, v224                       // 0000000071C0: D0480030 0003C1E0
	v_add3_u32 v46, v224, v49, 1                               // 0000000071C8: D1FF002E 020663E0
	v_cndmask_b32_e64 v50, v46, v48, s[48:49]                  // 0000000071D0: D1000032 00C2612E
	v_cmp_u_f32_e64 s[48:49], v225, v225                       // 0000000071D8: D0480030 0003C3E1
	v_add3_u32 v46, v225, v49, 1                               // 0000000071E0: D1FF002E 020663E1
	v_cndmask_b32_e64 v51, v46, v48, s[48:49]                  // 0000000071E8: D1000033 00C2612E
	v_perm_b32 v224, v51, v50, s52                             // 0000000071F0: D1ED00E0 00D26533
	v_cmp_u_f32_e64 s[48:49], v226, v226                       // 0000000071F8: D0480030 0003C5E2
	v_add3_u32 v46, v226, v49, 1                               // 000000007200: D1FF002E 020663E2
	v_cndmask_b32_e64 v50, v46, v48, s[48:49]                  // 000000007208: D1000032 00C2612E
	v_cmp_u_f32_e64 s[48:49], v227, v227                       // 000000007210: D0480030 0003C7E3
	v_add3_u32 v46, v227, v49, 1                               // 000000007218: D1FF002E 020663E3
	v_cndmask_b32_e64 v51, v46, v48, s[48:49]                  // 000000007220: D1000033 00C2612E
	v_perm_b32 v225, v51, v50, s52                             // 000000007228: D1ED00E1 00D26533
	v_cmp_u_f32_e64 s[48:49], v228, v228                       // 000000007230: D0480030 0003C9E4
	v_add3_u32 v46, v228, v49, 1                               // 000000007238: D1FF002E 020663E4
	v_cndmask_b32_e64 v50, v46, v48, s[48:49]                  // 000000007240: D1000032 00C2612E
	v_cmp_u_f32_e64 s[48:49], v229, v229                       // 000000007248: D0480030 0003CBE5
	v_add3_u32 v46, v229, v49, 1                               // 000000007250: D1FF002E 020663E5
	v_cndmask_b32_e64 v51, v46, v48, s[48:49]                  // 000000007258: D1000033 00C2612E
	v_perm_b32 v226, v51, v50, s52                             // 000000007260: D1ED00E2 00D26533
	v_cmp_u_f32_e64 s[48:49], v230, v230                       // 000000007268: D0480030 0003CDE6
	v_add3_u32 v46, v230, v49, 1                               // 000000007270: D1FF002E 020663E6
	v_cndmask_b32_e64 v50, v46, v48, s[48:49]                  // 000000007278: D1000032 00C2612E
	v_cmp_u_f32_e64 s[48:49], v231, v231                       // 000000007280: D0480030 0003CFE7
	v_add3_u32 v46, v231, v49, 1                               // 000000007288: D1FF002E 020663E7
	v_cndmask_b32_e64 v51, v46, v48, s[48:49]                  // 000000007290: D1000033 00C2612E
	v_perm_b32 v227, v51, v50, s52                             // 000000007298: D1ED00E3 00D26533
	v_cmp_u_f32_e64 s[48:49], v232, v232                       // 0000000072A0: D0480030 0003D1E8
	v_add3_u32 v46, v232, v49, 1                               // 0000000072A8: D1FF002E 020663E8
	v_cndmask_b32_e64 v50, v46, v48, s[48:49]                  // 0000000072B0: D1000032 00C2612E
	v_cmp_u_f32_e64 s[48:49], v233, v233                       // 0000000072B8: D0480030 0003D3E9
	v_add3_u32 v46, v233, v49, 1                               // 0000000072C0: D1FF002E 020663E9
	v_cndmask_b32_e64 v51, v46, v48, s[48:49]                  // 0000000072C8: D1000033 00C2612E
	v_perm_b32 v228, v51, v50, s52                             // 0000000072D0: D1ED00E4 00D26533
	v_cmp_u_f32_e64 s[48:49], v234, v234                       // 0000000072D8: D0480030 0003D5EA
	v_add3_u32 v46, v234, v49, 1                               // 0000000072E0: D1FF002E 020663EA
	v_cndmask_b32_e64 v50, v46, v48, s[48:49]                  // 0000000072E8: D1000032 00C2612E
	v_cmp_u_f32_e64 s[48:49], v235, v235                       // 0000000072F0: D0480030 0003D7EB
	v_add3_u32 v46, v235, v49, 1                               // 0000000072F8: D1FF002E 020663EB
	v_cndmask_b32_e64 v51, v46, v48, s[48:49]                  // 000000007300: D1000033 00C2612E
	v_perm_b32 v229, v51, v50, s52                             // 000000007308: D1ED00E5 00D26533
	v_cmp_u_f32_e64 s[48:49], v236, v236                       // 000000007310: D0480030 0003D9EC
	v_add3_u32 v46, v236, v49, 1                               // 000000007318: D1FF002E 020663EC
	v_cndmask_b32_e64 v50, v46, v48, s[48:49]                  // 000000007320: D1000032 00C2612E
	v_cmp_u_f32_e64 s[48:49], v237, v237                       // 000000007328: D0480030 0003DBED
	v_add3_u32 v46, v237, v49, 1                               // 000000007330: D1FF002E 020663ED
	v_cndmask_b32_e64 v51, v46, v48, s[48:49]                  // 000000007338: D1000033 00C2612E
	v_perm_b32 v230, v51, v50, s52                             // 000000007340: D1ED00E6 00D26533
	v_cmp_u_f32_e64 s[48:49], v238, v238                       // 000000007348: D0480030 0003DDEE
	v_add3_u32 v46, v238, v49, 1                               // 000000007350: D1FF002E 020663EE
	v_cndmask_b32_e64 v50, v46, v48, s[48:49]                  // 000000007358: D1000032 00C2612E
	v_cmp_u_f32_e64 s[48:49], v239, v239                       // 000000007360: D0480030 0003DFEF
	v_add3_u32 v46, v239, v49, 1                               // 000000007368: D1FF002E 020663EF
	v_cndmask_b32_e64 v51, v46, v48, s[48:49]                  // 000000007370: D1000033 00C2612E
	v_perm_b32 v231, v51, v50, s52                             // 000000007378: D1ED00E7 00D26533
	v_cmp_u_f32_e64 s[48:49], v240, v240                       // 000000007380: D0480030 0003E1F0
	v_add3_u32 v46, v240, v49, 1                               // 000000007388: D1FF002E 020663F0
	v_cndmask_b32_e64 v50, v46, v48, s[48:49]                  // 000000007390: D1000032 00C2612E
	v_cmp_u_f32_e64 s[48:49], v241, v241                       // 000000007398: D0480030 0003E3F1
	v_add3_u32 v46, v241, v49, 1                               // 0000000073A0: D1FF002E 020663F1
	v_cndmask_b32_e64 v51, v46, v48, s[48:49]                  // 0000000073A8: D1000033 00C2612E
	v_perm_b32 v232, v51, v50, s52                             // 0000000073B0: D1ED00E8 00D26533
	v_cmp_u_f32_e64 s[48:49], v242, v242                       // 0000000073B8: D0480030 0003E5F2
	v_add3_u32 v46, v242, v49, 1                               // 0000000073C0: D1FF002E 020663F2
	v_cndmask_b32_e64 v50, v46, v48, s[48:49]                  // 0000000073C8: D1000032 00C2612E
	v_cmp_u_f32_e64 s[48:49], v243, v243                       // 0000000073D0: D0480030 0003E7F3
	v_add3_u32 v46, v243, v49, 1                               // 0000000073D8: D1FF002E 020663F3
	v_cndmask_b32_e64 v51, v46, v48, s[48:49]                  // 0000000073E0: D1000033 00C2612E
	v_perm_b32 v233, v51, v50, s52                             // 0000000073E8: D1ED00E9 00D26533
	v_cmp_u_f32_e64 s[48:49], v244, v244                       // 0000000073F0: D0480030 0003E9F4
	v_add3_u32 v46, v244, v49, 1                               // 0000000073F8: D1FF002E 020663F4
	v_cndmask_b32_e64 v50, v46, v48, s[48:49]                  // 000000007400: D1000032 00C2612E
	v_cmp_u_f32_e64 s[48:49], v245, v245                       // 000000007408: D0480030 0003EBF5
	v_add3_u32 v46, v245, v49, 1                               // 000000007410: D1FF002E 020663F5
	v_cndmask_b32_e64 v51, v46, v48, s[48:49]                  // 000000007418: D1000033 00C2612E
	v_perm_b32 v234, v51, v50, s52                             // 000000007420: D1ED00EA 00D26533
	v_cmp_u_f32_e64 s[48:49], v246, v246                       // 000000007428: D0480030 0003EDF6
	v_add3_u32 v46, v246, v49, 1                               // 000000007430: D1FF002E 020663F6
	v_cndmask_b32_e64 v50, v46, v48, s[48:49]                  // 000000007438: D1000032 00C2612E
	v_cmp_u_f32_e64 s[48:49], v247, v247                       // 000000007440: D0480030 0003EFF7
	v_add3_u32 v46, v247, v49, 1                               // 000000007448: D1FF002E 020663F7
	v_cndmask_b32_e64 v51, v46, v48, s[48:49]                  // 000000007450: D1000033 00C2612E
	v_perm_b32 v235, v51, v50, s52                             // 000000007458: D1ED00EB 00D26533
	v_cmp_u_f32_e64 s[48:49], v248, v248                       // 000000007460: D0480030 0003F1F8
	v_add3_u32 v46, v248, v49, 1                               // 000000007468: D1FF002E 020663F8
	v_cndmask_b32_e64 v50, v46, v48, s[48:49]                  // 000000007470: D1000032 00C2612E
	v_cmp_u_f32_e64 s[48:49], v249, v249                       // 000000007478: D0480030 0003F3F9
	v_add3_u32 v46, v249, v49, 1                               // 000000007480: D1FF002E 020663F9
	v_cndmask_b32_e64 v51, v46, v48, s[48:49]                  // 000000007488: D1000033 00C2612E
	v_perm_b32 v236, v51, v50, s52                             // 000000007490: D1ED00EC 00D26533
	v_cmp_u_f32_e64 s[48:49], v250, v250                       // 000000007498: D0480030 0003F5FA
	v_add3_u32 v46, v250, v49, 1                               // 0000000074A0: D1FF002E 020663FA
	v_cndmask_b32_e64 v50, v46, v48, s[48:49]                  // 0000000074A8: D1000032 00C2612E
	v_cmp_u_f32_e64 s[48:49], v251, v251                       // 0000000074B0: D0480030 0003F7FB
	v_add3_u32 v46, v251, v49, 1                               // 0000000074B8: D1FF002E 020663FB
	v_cndmask_b32_e64 v51, v46, v48, s[48:49]                  // 0000000074C0: D1000033 00C2612E
	v_perm_b32 v237, v51, v50, s52                             // 0000000074C8: D1ED00ED 00D26533
	v_cmp_u_f32_e64 s[48:49], v252, v252                       // 0000000074D0: D0480030 0003F9FC
	v_add3_u32 v46, v252, v49, 1                               // 0000000074D8: D1FF002E 020663FC
	v_cndmask_b32_e64 v50, v46, v48, s[48:49]                  // 0000000074E0: D1000032 00C2612E
	v_cmp_u_f32_e64 s[48:49], v253, v253                       // 0000000074E8: D0480030 0003FBFD
	v_add3_u32 v46, v253, v49, 1                               // 0000000074F0: D1FF002E 020663FD
	v_cndmask_b32_e64 v51, v46, v48, s[48:49]                  // 0000000074F8: D1000033 00C2612E
	v_perm_b32 v238, v51, v50, s52                             // 000000007500: D1ED00EE 00D26533
	v_cmp_u_f32_e64 s[48:49], v254, v254                       // 000000007508: D0480030 0003FDFE
	v_add3_u32 v46, v254, v49, 1                               // 000000007510: D1FF002E 020663FE
	v_cndmask_b32_e64 v50, v46, v48, s[48:49]                  // 000000007518: D1000032 00C2612E
	v_cmp_u_f32_e64 s[48:49], v255, v255                       // 000000007520: D0480030 0003FFFF
	v_add3_u32 v46, v255, v49, 1                               // 000000007528: D1FF002E 020663FF
	v_cndmask_b32_e64 v51, v46, v48, s[48:49]                  // 000000007530: D1000033 00C2612E
	v_perm_b32 v239, v51, v50, s52                             // 000000007538: D1ED00EF 00D26533
	ds_write_b64 v3, v[224:225] offset:35072                   // 000000007540: D89A8900 0000E003
	ds_write_b64 v3, v[226:227] offset:43776                   // 000000007548: D89AAB00 0000E203
	ds_write_b64 v3, v[228:229] offset:37248                   // 000000007550: D89A9180 0000E403
	ds_write_b64 v3, v[230:231] offset:45952                   // 000000007558: D89AB380 0000E603
	ds_write_b64 v3, v[232:233] offset:39424                   // 000000007560: D89A9A00 0000E803
	ds_write_b64 v3, v[234:235] offset:48128                   // 000000007568: D89ABC00 0000EA03
	ds_write_b64 v3, v[236:237] offset:41600                   // 000000007570: D89AA280 0000EC03
	ds_write_b64 v3, v[238:239] offset:50304                   // 000000007578: D89AC480 0000EE03
	s_waitcnt lgkmcnt(0)                                       // 000000007580: BF8CC07F
	s_barrier                                                  // 000000007584: BF8A0000
	ds_read_b32 v64, v4 offset:35072                           // 000000007588: D86C8900 40000004
	ds_read_b32 v65, v4 offset:39424                           // 000000007590: D86C9A00 41000004
	ds_read_b32 v66, v4 offset:35104                           // 000000007598: D86C8920 42000004
	ds_read_b32 v67, v4 offset:39456                           // 0000000075A0: D86C9A20 43000004
	ds_read_b32 v68, v4 offset:35136                           // 0000000075A8: D86C8940 44000004
	ds_read_b32 v69, v4 offset:39488                           // 0000000075B0: D86C9A40 45000004
	ds_read_b32 v70, v4 offset:35168                           // 0000000075B8: D86C8960 46000004
	ds_read_b32 v71, v4 offset:39520                           // 0000000075C0: D86C9A60 47000004
	ds_read_b32 v72, v4 offset:43776                           // 0000000075C8: D86CAB00 48000004
	ds_read_b32 v73, v4 offset:48128                           // 0000000075D0: D86CBC00 49000004
	ds_read_b32 v74, v4 offset:43808                           // 0000000075D8: D86CAB20 4A000004
	ds_read_b32 v75, v4 offset:48160                           // 0000000075E0: D86CBC20 4B000004
	ds_read_b32 v76, v4 offset:43840                           // 0000000075E8: D86CAB40 4C000004
	ds_read_b32 v77, v4 offset:48192                           // 0000000075F0: D86CBC40 4D000004
	ds_read_b32 v78, v4 offset:43872                           // 0000000075F8: D86CAB60 4E000004
	ds_read_b32 v79, v4 offset:48224                           // 000000007600: D86CBC60 4F000004
	s_waitcnt lgkmcnt(0)                                       // 000000007608: BF8CC07F
	s_mov_b64 exec, s[20:21]                                   // 00000000760C: BEFE0114
	global_atomic_pk_add_bf16 v80, v64, s[8:9]                 // 000000007610: DD488000 00084050
	s_mov_b64 exec, s[36:37]                                   // 000000007618: BEFE0124
	s_mov_b64 exec, s[20:21]                                   // 00000000761C: BEFE0114
	global_atomic_pk_add_bf16 v80, v65, s[8:9] offset:256      // 000000007620: DD488100 00084150
	s_mov_b64 exec, s[36:37]                                   // 000000007628: BEFE0124
	s_mov_b64 exec, s[22:23]                                   // 00000000762C: BEFE0116
	global_atomic_pk_add_bf16 v82, v66, s[8:9]                 // 000000007630: DD488000 00084252
	s_mov_b64 exec, s[36:37]                                   // 000000007638: BEFE0124
	s_mov_b64 exec, s[22:23]                                   // 00000000763C: BEFE0116
	global_atomic_pk_add_bf16 v82, v67, s[8:9] offset:256      // 000000007640: DD488100 00084352
	s_mov_b64 exec, s[36:37]                                   // 000000007648: BEFE0124
	s_mov_b64 exec, s[24:25]                                   // 00000000764C: BEFE0118
	global_atomic_pk_add_bf16 v84, v68, s[8:9]                 // 000000007650: DD488000 00084454
	s_mov_b64 exec, s[36:37]                                   // 000000007658: BEFE0124
	s_mov_b64 exec, s[24:25]                                   // 00000000765C: BEFE0118
	global_atomic_pk_add_bf16 v84, v69, s[8:9] offset:256      // 000000007660: DD488100 00084554
	s_mov_b64 exec, s[36:37]                                   // 000000007668: BEFE0124
	s_mov_b64 exec, s[26:27]                                   // 00000000766C: BEFE011A
	global_atomic_pk_add_bf16 v86, v70, s[8:9]                 // 000000007670: DD488000 00084656
	s_mov_b64 exec, s[36:37]                                   // 000000007678: BEFE0124
	s_mov_b64 exec, s[26:27]                                   // 00000000767C: BEFE011A
	global_atomic_pk_add_bf16 v86, v71, s[8:9] offset:256      // 000000007680: DD488100 00084756
	s_mov_b64 exec, s[36:37]                                   // 000000007688: BEFE0124
	s_mov_b64 exec, s[28:29]                                   // 00000000768C: BEFE011C
	global_atomic_pk_add_bf16 v88, v72, s[8:9]                 // 000000007690: DD488000 00084858
	s_mov_b64 exec, s[36:37]                                   // 000000007698: BEFE0124
	s_mov_b64 exec, s[28:29]                                   // 00000000769C: BEFE011C
	global_atomic_pk_add_bf16 v88, v73, s[8:9] offset:256      // 0000000076A0: DD488100 00084958
	s_mov_b64 exec, s[36:37]                                   // 0000000076A8: BEFE0124
	s_mov_b64 exec, s[30:31]                                   // 0000000076AC: BEFE011E
	global_atomic_pk_add_bf16 v90, v74, s[8:9]                 // 0000000076B0: DD488000 00084A5A
	s_mov_b64 exec, s[36:37]                                   // 0000000076B8: BEFE0124
	s_mov_b64 exec, s[30:31]                                   // 0000000076BC: BEFE011E
	global_atomic_pk_add_bf16 v90, v75, s[8:9] offset:256      // 0000000076C0: DD488100 00084B5A
	s_mov_b64 exec, s[36:37]                                   // 0000000076C8: BEFE0124
	s_mov_b64 exec, s[32:33]                                   // 0000000076CC: BEFE0120
	global_atomic_pk_add_bf16 v92, v76, s[8:9]                 // 0000000076D0: DD488000 00084C5C
	s_mov_b64 exec, s[36:37]                                   // 0000000076D8: BEFE0124
	s_mov_b64 exec, s[32:33]                                   // 0000000076DC: BEFE0120
	global_atomic_pk_add_bf16 v92, v77, s[8:9] offset:256      // 0000000076E0: DD488100 00084D5C
	s_mov_b64 exec, s[36:37]                                   // 0000000076E8: BEFE0124
	s_mov_b64 exec, s[34:35]                                   // 0000000076EC: BEFE0122
	global_atomic_pk_add_bf16 v94, v78, s[8:9]                 // 0000000076F0: DD488000 00084E5E
	s_mov_b64 exec, s[36:37]                                   // 0000000076F8: BEFE0124
	s_mov_b64 exec, s[34:35]                                   // 0000000076FC: BEFE0122
	global_atomic_pk_add_bf16 v94, v79, s[8:9] offset:256      // 000000007700: DD488100 00084F5E
	s_mov_b64 exec, s[36:37]                                   // 000000007708: BEFE0124
	s_add_u32 s8, s59, s8                                      // 00000000770C: 8008083B
	s_addc_u32 s9, 0, s9                                       // 000000007710: 82090980
	s_addk_i32 s80, 0x100                                      // 000000007714: B7500100
	s_cmp_lt_i32 s80, s81                                      // 000000007718: BF045150
	s_cbranch_scc0 label_1309                                  // 00000000771C: BF840001
	s_branch label_0C52                                        // 000000007720: BF82F949

0000000000007724 <label_1309>:
	s_nop 0                                                    // 000000007724: BF800000
	s_nop 0                                                    // 000000007728: BF800000
	s_branch label_236D                                        // 00000000772C: BF821061

0000000000007730 <label_130C>:
	s_waitcnt vmcnt(24) lgkmcnt(0)                             // 000000007730: BF8C4078
	s_barrier                                                  // 000000007734: BF8A0000
	v_mfma_i32_16x16x32_i8 v[128:131], a[0:1], v[192:193], v[128:131]// 000000007738: D3D70080 0E038100
	buffer_load_dwordx4 a[128:131], v34, s[24:27], 0 offen     // 000000007740: E05C1000 80868022
	v_mfma_i32_16x16x32_i8 v[128:131], a[2:3], v[194:195], v[128:131]// 000000007748: D3D70080 0E038502
	v_mfma_i32_16x16x32_i8 v[128:131], a[4:5], v[196:197], v[128:131]// 000000007750: D3D70080 0E038904
	buffer_load_dword v26, s[20:23], 0 offen lds               // 000000007758: E0511000 8005001A
	s_add_u32 m0, 0x100, s50                                   // 000000007760: 807C32FF 00000100
	v_mfma_i32_16x16x32_i8 v[128:131], a[6:7], v[198:199], v[128:131]// 000000007768: D3D70080 0E038D06
	v_mfma_i32_16x16x32_i8 v[128:131], a[8:9], v[200:201], v[128:131]// 000000007770: D3D70080 0E039108
	buffer_load_dwordx4 a[132:135], v34, s[24:27], 0 offen offset:1024// 000000007778: E05C1400 80868422
	v_mfma_i32_16x16x32_i8 v[128:131], a[10:11], v[202:203], v[128:131]// 000000007780: D3D70080 0E03950A
	v_mfma_i32_16x16x32_i8 v[128:131], a[12:13], v[204:205], v[128:131]// 000000007788: D3D70080 0E03990C
	buffer_load_dword v27, s[20:23], 0 offen lds               // 000000007790: E0511000 8005001B
	s_add_u32 m0, 0x200, s50                                   // 000000007798: 807C32FF 00000200
	v_mfma_i32_16x16x32_i8 v[128:131], a[14:15], v[206:207], v[128:131]// 0000000077A0: D3D70080 0E039D0E
	v_mfma_i32_16x16x32_i8 v[132:135], a[0:1], v[208:209], v[132:135]// 0000000077A8: D3D70084 0E13A100
	buffer_load_dwordx4 a[136:139], v34, s[24:27], 0 offen offset:2048// 0000000077B0: E05C1800 80868822
	v_mfma_i32_16x16x32_i8 v[132:135], a[2:3], v[210:211], v[132:135]// 0000000077B8: D3D70084 0E13A502
	v_mfma_i32_16x16x32_i8 v[132:135], a[4:5], v[212:213], v[132:135]// 0000000077C0: D3D70084 0E13A904
	buffer_load_dword v28, s[20:23], 0 offen lds               // 0000000077C8: E0511000 8005001C
	s_add_u32 m0, 0x300, s50                                   // 0000000077D0: 807C32FF 00000300
	v_mfma_i32_16x16x32_i8 v[132:135], a[6:7], v[214:215], v[132:135]// 0000000077D8: D3D70084 0E13AD06
	v_mfma_i32_16x16x32_i8 v[132:135], a[8:9], v[216:217], v[132:135]// 0000000077E0: D3D70084 0E13B108
	buffer_load_dwordx4 a[140:143], v34, s[24:27], 0 offen offset:3072// 0000000077E8: E05C1C00 80868C22
	v_mfma_i32_16x16x32_i8 v[132:135], a[10:11], v[218:219], v[132:135]// 0000000077F0: D3D70084 0E13B50A
	v_mfma_i32_16x16x32_i8 v[132:135], a[12:13], v[220:221], v[132:135]// 0000000077F8: D3D70084 0E13B90C
	buffer_load_dword v29, s[20:23], 0 offen lds               // 000000007800: E0511000 8005001D
	s_add_u32 m0, 0x400, s50                                   // 000000007808: 807C32FF 00000400
	v_mfma_i32_16x16x32_i8 v[132:135], a[14:15], v[222:223], v[132:135]// 000000007810: D3D70084 0E13BD0E
	v_mfma_i32_16x16x32_i8 v[136:139], a[16:17], v[192:193], v[136:139]// 000000007818: D3D70088 0E238110
	buffer_load_dwordx4 a[144:147], v35, s[24:27], 0 offen     // 000000007820: E05C1000 80869023
	v_mfma_i32_16x16x32_i8 v[136:139], a[18:19], v[194:195], v[136:139]// 000000007828: D3D70088 0E238512
	v_mfma_i32_16x16x32_i8 v[136:139], a[20:21], v[196:197], v[136:139]// 000000007830: D3D70088 0E238914
	buffer_load_dword v30, s[20:23], 0 offen lds               // 000000007838: E0511000 8005001E
	s_add_u32 m0, 0x500, s50                                   // 000000007840: 807C32FF 00000500
	v_mfma_i32_16x16x32_i8 v[136:139], a[22:23], v[198:199], v[136:139]// 000000007848: D3D70088 0E238D16
	v_mfma_i32_16x16x32_i8 v[136:139], a[24:25], v[200:201], v[136:139]// 000000007850: D3D70088 0E239118
	buffer_load_dwordx4 a[148:151], v35, s[24:27], 0 offen offset:1024// 000000007858: E05C1400 80869423
	v_mfma_i32_16x16x32_i8 v[136:139], a[26:27], v[202:203], v[136:139]// 000000007860: D3D70088 0E23951A
	v_mfma_i32_16x16x32_i8 v[136:139], a[28:29], v[204:205], v[136:139]// 000000007868: D3D70088 0E23991C
	buffer_load_dword v31, s[20:23], 0 offen lds               // 000000007870: E0511000 8005001F
	s_add_u32 m0, 0x600, s50                                   // 000000007878: 807C32FF 00000600
	v_mfma_i32_16x16x32_i8 v[136:139], a[30:31], v[206:207], v[136:139]// 000000007880: D3D70088 0E239D1E
	v_mfma_i32_16x16x32_i8 v[140:143], a[16:17], v[208:209], v[140:143]// 000000007888: D3D7008C 0E33A110
	buffer_load_dwordx4 a[152:155], v35, s[24:27], 0 offen offset:2048// 000000007890: E05C1800 80869823
	v_mfma_i32_16x16x32_i8 v[140:143], a[18:19], v[210:211], v[140:143]// 000000007898: D3D7008C 0E33A512
	v_mfma_i32_16x16x32_i8 v[140:143], a[20:21], v[212:213], v[140:143]// 0000000078A0: D3D7008C 0E33A914
	buffer_load_dword v32, s[20:23], 0 offen lds               // 0000000078A8: E0511000 80050020
	s_add_u32 m0, 0x700, s50                                   // 0000000078B0: 807C32FF 00000700
	v_mfma_i32_16x16x32_i8 v[140:143], a[22:23], v[214:215], v[140:143]// 0000000078B8: D3D7008C 0E33AD16
	v_mfma_i32_16x16x32_i8 v[140:143], a[24:25], v[216:217], v[140:143]// 0000000078C0: D3D7008C 0E33B118
	buffer_load_dwordx4 a[156:159], v35, s[24:27], 0 offen offset:3072// 0000000078C8: E05C1C00 80869C23
	v_mfma_i32_16x16x32_i8 v[140:143], a[26:27], v[218:219], v[140:143]// 0000000078D0: D3D7008C 0E33B51A
	v_mfma_i32_16x16x32_i8 v[140:143], a[28:29], v[220:221], v[140:143]// 0000000078D8: D3D7008C 0E33B91C
	buffer_load_dword v33, s[20:23], 0 offen lds               // 0000000078E0: E0511000 80050021
	s_add_u32 m0, 0, s51                                       // 0000000078E8: 807C3380
	v_mfma_i32_16x16x32_i8 v[140:143], a[30:31], v[222:223], v[140:143]// 0000000078EC: D3D7008C 0E33BD1E
	s_waitcnt vmcnt(36)                                        // 0000000078F4: BF8C8F74
	v_mfma_i32_16x16x32_i8 v[144:147], a[32:33], v[192:193], v[144:147]// 0000000078F8: D3D70090 0E438120
	buffer_load_dwordx4 a[160:163], v36, s[24:27], 0 offen     // 000000007900: E05C1000 8086A024
	v_mfma_i32_16x16x32_i8 v[144:147], a[34:35], v[194:195], v[144:147]// 000000007908: D3D70090 0E438522
	v_mfma_i32_16x16x32_i8 v[144:147], a[36:37], v[196:197], v[144:147]// 000000007910: D3D70090 0E438924
	ds_read_b128 v[224:227], v2 offset:8320                    // 000000007918: D9FE2080 E0000002
	v_mfma_i32_16x16x32_i8 v[144:147], a[38:39], v[198:199], v[144:147]// 000000007920: D3D70090 0E438D26
	v_mfma_i32_16x16x32_i8 v[144:147], a[40:41], v[200:201], v[144:147]// 000000007928: D3D70090 0E439128
	buffer_load_dwordx4 a[164:167], v36, s[24:27], 0 offen offset:1024// 000000007930: E05C1400 8086A424
	v_mfma_i32_16x16x32_i8 v[144:147], a[42:43], v[202:203], v[144:147]// 000000007938: D3D70090 0E43952A
	v_mfma_i32_16x16x32_i8 v[144:147], a[44:45], v[204:205], v[144:147]// 000000007940: D3D70090 0E43992C
	ds_read_b128 v[228:231], v2 offset:8384                    // 000000007948: D9FE20C0 E4000002
	v_mfma_i32_16x16x32_i8 v[144:147], a[46:47], v[206:207], v[144:147]// 000000007950: D3D70090 0E439D2E
	v_mfma_i32_16x16x32_i8 v[148:151], a[32:33], v[208:209], v[148:151]// 000000007958: D3D70094 0E53A120
	buffer_load_dwordx4 a[168:171], v36, s[24:27], 0 offen offset:2048// 000000007960: E05C1800 8086A824
	v_mfma_i32_16x16x32_i8 v[148:151], a[34:35], v[210:211], v[148:151]// 000000007968: D3D70094 0E53A522
	v_mfma_i32_16x16x32_i8 v[148:151], a[36:37], v[212:213], v[148:151]// 000000007970: D3D70094 0E53A924
	ds_read_b128 v[232:235], v2 offset:8448                    // 000000007978: D9FE2100 E8000002
	v_mfma_i32_16x16x32_i8 v[148:151], a[38:39], v[214:215], v[148:151]// 000000007980: D3D70094 0E53AD26
	v_mfma_i32_16x16x32_i8 v[148:151], a[40:41], v[216:217], v[148:151]// 000000007988: D3D70094 0E53B128
	buffer_load_dwordx4 a[172:175], v36, s[24:27], 0 offen offset:3072// 000000007990: E05C1C00 8086AC24
	v_mfma_i32_16x16x32_i8 v[148:151], a[42:43], v[218:219], v[148:151]// 000000007998: D3D70094 0E53B52A
	v_mfma_i32_16x16x32_i8 v[148:151], a[44:45], v[220:221], v[148:151]// 0000000079A0: D3D70094 0E53B92C
	ds_read_b128 v[236:239], v2 offset:8512                    // 0000000079A8: D9FE2140 EC000002
	v_mfma_i32_16x16x32_i8 v[148:151], a[46:47], v[222:223], v[148:151]// 0000000079B0: D3D70094 0E53BD2E
	s_waitcnt vmcnt(36)                                        // 0000000079B8: BF8C8F74
	v_mfma_i32_16x16x32_i8 v[152:155], a[48:49], v[192:193], v[152:155]// 0000000079BC: D3D70098 0E638130
	buffer_load_dwordx4 a[176:179], v37, s[24:27], 0 offen     // 0000000079C4: E05C1000 8086B025
	v_mfma_i32_16x16x32_i8 v[152:155], a[50:51], v[194:195], v[152:155]// 0000000079CC: D3D70098 0E638532
	v_mfma_i32_16x16x32_i8 v[152:155], a[52:53], v[196:197], v[152:155]// 0000000079D4: D3D70098 0E638934
	ds_read_b128 v[240:243], v2 offset:9344                    // 0000000079DC: D9FE2480 F0000002
	v_mfma_i32_16x16x32_i8 v[152:155], a[54:55], v[198:199], v[152:155]// 0000000079E4: D3D70098 0E638D36
	v_mfma_i32_16x16x32_i8 v[152:155], a[56:57], v[200:201], v[152:155]// 0000000079EC: D3D70098 0E639138
	buffer_load_dwordx4 a[180:183], v37, s[24:27], 0 offen offset:1024// 0000000079F4: E05C1400 8086B425
	v_mfma_i32_16x16x32_i8 v[152:155], a[58:59], v[202:203], v[152:155]// 0000000079FC: D3D70098 0E63953A
	v_mfma_i32_16x16x32_i8 v[152:155], a[60:61], v[204:205], v[152:155]// 000000007A04: D3D70098 0E63993C
	ds_read_b128 v[244:247], v2 offset:9408                    // 000000007A0C: D9FE24C0 F4000002
	v_mfma_i32_16x16x32_i8 v[152:155], a[62:63], v[206:207], v[152:155]// 000000007A14: D3D70098 0E639D3E
	v_mfma_i32_16x16x32_i8 v[156:159], a[48:49], v[208:209], v[156:159]// 000000007A1C: D3D7009C 0E73A130
	buffer_load_dwordx4 a[184:187], v37, s[24:27], 0 offen offset:2048// 000000007A24: E05C1800 8086B825
	v_mfma_i32_16x16x32_i8 v[156:159], a[50:51], v[210:211], v[156:159]// 000000007A2C: D3D7009C 0E73A532
	v_mfma_i32_16x16x32_i8 v[156:159], a[52:53], v[212:213], v[156:159]// 000000007A34: D3D7009C 0E73A934
	ds_read_b128 v[248:251], v2 offset:9472                    // 000000007A3C: D9FE2500 F8000002
	v_mfma_i32_16x16x32_i8 v[156:159], a[54:55], v[214:215], v[156:159]// 000000007A44: D3D7009C 0E73AD36
	v_mfma_i32_16x16x32_i8 v[156:159], a[56:57], v[216:217], v[156:159]// 000000007A4C: D3D7009C 0E73B138
	buffer_load_dwordx4 a[188:191], v37, s[24:27], 0 offen offset:3072// 000000007A54: E05C1C00 8086BC25
	v_mfma_i32_16x16x32_i8 v[156:159], a[58:59], v[218:219], v[156:159]// 000000007A5C: D3D7009C 0E73B53A
	v_mfma_i32_16x16x32_i8 v[156:159], a[60:61], v[220:221], v[156:159]// 000000007A64: D3D7009C 0E73B93C
	ds_read_b128 v[252:255], v2 offset:9536                    // 000000007A6C: D9FE2540 FC000002
	v_mfma_i32_16x16x32_i8 v[156:159], a[62:63], v[222:223], v[156:159]// 000000007A74: D3D7009C 0E73BD3E
	s_waitcnt vmcnt(36)                                        // 000000007A7C: BF8C8F74
	v_mfma_i32_16x16x32_i8 v[160:163], a[64:65], v[192:193], v[160:163]// 000000007A80: D3D700A0 0E838140
	buffer_load_dwordx4 a[192:195], v38, s[24:27], 0 offen     // 000000007A88: E05C1000 8086C026
	v_mfma_i32_16x16x32_i8 v[160:163], a[66:67], v[194:195], v[160:163]// 000000007A90: D3D700A0 0E838542
	v_mfma_i32_16x16x32_i8 v[160:163], a[68:69], v[196:197], v[160:163]// 000000007A98: D3D700A0 0E838944
	v_mfma_i32_16x16x32_i8 v[160:163], a[70:71], v[198:199], v[160:163]// 000000007AA0: D3D700A0 0E838D46
	v_mfma_i32_16x16x32_i8 v[160:163], a[72:73], v[200:201], v[160:163]// 000000007AA8: D3D700A0 0E839148
	buffer_load_dwordx4 a[196:199], v38, s[24:27], 0 offen offset:1024// 000000007AB0: E05C1400 8086C426
	v_mfma_i32_16x16x32_i8 v[160:163], a[74:75], v[202:203], v[160:163]// 000000007AB8: D3D700A0 0E83954A
	v_mfma_i32_16x16x32_i8 v[160:163], a[76:77], v[204:205], v[160:163]// 000000007AC0: D3D700A0 0E83994C
	v_mfma_i32_16x16x32_i8 v[160:163], a[78:79], v[206:207], v[160:163]// 000000007AC8: D3D700A0 0E839D4E
	v_mfma_i32_16x16x32_i8 v[164:167], a[64:65], v[208:209], v[164:167]// 000000007AD0: D3D700A4 0E93A140
	buffer_load_dwordx4 a[200:203], v38, s[24:27], 0 offen offset:2048// 000000007AD8: E05C1800 8086C826
	v_mfma_i32_16x16x32_i8 v[164:167], a[66:67], v[210:211], v[164:167]// 000000007AE0: D3D700A4 0E93A542
	v_mfma_i32_16x16x32_i8 v[164:167], a[68:69], v[212:213], v[164:167]// 000000007AE8: D3D700A4 0E93A944
	v_mfma_i32_16x16x32_i8 v[164:167], a[70:71], v[214:215], v[164:167]// 000000007AF0: D3D700A4 0E93AD46
	v_mfma_i32_16x16x32_i8 v[164:167], a[72:73], v[216:217], v[164:167]// 000000007AF8: D3D700A4 0E93B148
	buffer_load_dwordx4 a[204:207], v38, s[24:27], 0 offen offset:3072// 000000007B00: E05C1C00 8086CC26
	v_mfma_i32_16x16x32_i8 v[164:167], a[74:75], v[218:219], v[164:167]// 000000007B08: D3D700A4 0E93B54A
	v_mfma_i32_16x16x32_i8 v[164:167], a[76:77], v[220:221], v[164:167]// 000000007B10: D3D700A4 0E93B94C
	v_mfma_i32_16x16x32_i8 v[164:167], a[78:79], v[222:223], v[164:167]// 000000007B18: D3D700A4 0E93BD4E
	s_waitcnt vmcnt(36)                                        // 000000007B20: BF8C8F74
	v_mfma_i32_16x16x32_i8 v[168:171], a[80:81], v[192:193], v[168:171]// 000000007B24: D3D700A8 0EA38150
	buffer_load_dwordx4 a[208:211], v39, s[24:27], 0 offen     // 000000007B2C: E05C1000 8086D027
	v_mfma_i32_16x16x32_i8 v[168:171], a[82:83], v[194:195], v[168:171]// 000000007B34: D3D700A8 0EA38552
	v_mfma_i32_16x16x32_i8 v[168:171], a[84:85], v[196:197], v[168:171]// 000000007B3C: D3D700A8 0EA38954
	v_mfma_i32_16x16x32_i8 v[168:171], a[86:87], v[198:199], v[168:171]// 000000007B44: D3D700A8 0EA38D56
	v_mfma_i32_16x16x32_i8 v[168:171], a[88:89], v[200:201], v[168:171]// 000000007B4C: D3D700A8 0EA39158
	buffer_load_dwordx4 a[212:215], v39, s[24:27], 0 offen offset:1024// 000000007B54: E05C1400 8086D427
	v_mfma_i32_16x16x32_i8 v[168:171], a[90:91], v[202:203], v[168:171]// 000000007B5C: D3D700A8 0EA3955A
	v_mfma_i32_16x16x32_i8 v[168:171], a[92:93], v[204:205], v[168:171]// 000000007B64: D3D700A8 0EA3995C
	v_mfma_i32_16x16x32_i8 v[168:171], a[94:95], v[206:207], v[168:171]// 000000007B6C: D3D700A8 0EA39D5E
	v_mfma_i32_16x16x32_i8 v[172:175], a[80:81], v[208:209], v[172:175]// 000000007B74: D3D700AC 0EB3A150
	buffer_load_dwordx4 a[216:219], v39, s[24:27], 0 offen offset:2048// 000000007B7C: E05C1800 8086D827
	v_mfma_i32_16x16x32_i8 v[172:175], a[82:83], v[210:211], v[172:175]// 000000007B84: D3D700AC 0EB3A552
	v_mfma_i32_16x16x32_i8 v[172:175], a[84:85], v[212:213], v[172:175]// 000000007B8C: D3D700AC 0EB3A954
	v_mfma_i32_16x16x32_i8 v[172:175], a[86:87], v[214:215], v[172:175]// 000000007B94: D3D700AC 0EB3AD56
	v_mfma_i32_16x16x32_i8 v[172:175], a[88:89], v[216:217], v[172:175]// 000000007B9C: D3D700AC 0EB3B158
	buffer_load_dwordx4 a[220:223], v39, s[24:27], 0 offen offset:3072// 000000007BA4: E05C1C00 8086DC27
	v_mfma_i32_16x16x32_i8 v[172:175], a[90:91], v[218:219], v[172:175]// 000000007BAC: D3D700AC 0EB3B55A
	v_mfma_i32_16x16x32_i8 v[172:175], a[92:93], v[220:221], v[172:175]// 000000007BB4: D3D700AC 0EB3B95C
	v_mfma_i32_16x16x32_i8 v[172:175], a[94:95], v[222:223], v[172:175]// 000000007BBC: D3D700AC 0EB3BD5E
	s_waitcnt vmcnt(36)                                        // 000000007BC4: BF8C8F74
	v_mfma_i32_16x16x32_i8 v[176:179], a[96:97], v[192:193], v[176:179]// 000000007BC8: D3D700B0 0EC38160
	buffer_load_dwordx4 a[224:227], v40, s[24:27], 0 offen     // 000000007BD0: E05C1000 8086E028
	v_mfma_i32_16x16x32_i8 v[176:179], a[98:99], v[194:195], v[176:179]// 000000007BD8: D3D700B0 0EC38562
	v_mfma_i32_16x16x32_i8 v[176:179], a[100:101], v[196:197], v[176:179]// 000000007BE0: D3D700B0 0EC38964
	v_mfma_i32_16x16x32_i8 v[176:179], a[102:103], v[198:199], v[176:179]// 000000007BE8: D3D700B0 0EC38D66
	v_mfma_i32_16x16x32_i8 v[176:179], a[104:105], v[200:201], v[176:179]// 000000007BF0: D3D700B0 0EC39168
	buffer_load_dwordx4 a[228:231], v40, s[24:27], 0 offen offset:1024// 000000007BF8: E05C1400 8086E428
	v_mfma_i32_16x16x32_i8 v[176:179], a[106:107], v[202:203], v[176:179]// 000000007C00: D3D700B0 0EC3956A
	v_mfma_i32_16x16x32_i8 v[176:179], a[108:109], v[204:205], v[176:179]// 000000007C08: D3D700B0 0EC3996C
	v_mfma_i32_16x16x32_i8 v[176:179], a[110:111], v[206:207], v[176:179]// 000000007C10: D3D700B0 0EC39D6E
	v_mfma_i32_16x16x32_i8 v[180:183], a[96:97], v[208:209], v[180:183]// 000000007C18: D3D700B4 0ED3A160
	buffer_load_dwordx4 a[232:235], v40, s[24:27], 0 offen offset:2048// 000000007C20: E05C1800 8086E828
	v_mfma_i32_16x16x32_i8 v[180:183], a[98:99], v[210:211], v[180:183]// 000000007C28: D3D700B4 0ED3A562
	v_mfma_i32_16x16x32_i8 v[180:183], a[100:101], v[212:213], v[180:183]// 000000007C30: D3D700B4 0ED3A964
	v_mfma_i32_16x16x32_i8 v[180:183], a[102:103], v[214:215], v[180:183]// 000000007C38: D3D700B4 0ED3AD66
	v_mfma_i32_16x16x32_i8 v[180:183], a[104:105], v[216:217], v[180:183]// 000000007C40: D3D700B4 0ED3B168
	buffer_load_dwordx4 a[236:239], v40, s[24:27], 0 offen offset:3072// 000000007C48: E05C1C00 8086EC28
	v_mfma_i32_16x16x32_i8 v[180:183], a[106:107], v[218:219], v[180:183]// 000000007C50: D3D700B4 0ED3B56A
	v_mfma_i32_16x16x32_i8 v[180:183], a[108:109], v[220:221], v[180:183]// 000000007C58: D3D700B4 0ED3B96C
	v_mfma_i32_16x16x32_i8 v[180:183], a[110:111], v[222:223], v[180:183]// 000000007C60: D3D700B4 0ED3BD6E
	s_waitcnt vmcnt(36)                                        // 000000007C68: BF8C8F74
	v_mfma_i32_16x16x32_i8 v[184:187], a[112:113], v[192:193], v[184:187]// 000000007C6C: D3D700B8 0EE38170
	buffer_load_dwordx4 a[240:243], v41, s[24:27], 0 offen     // 000000007C74: E05C1000 8086F029
	v_mfma_i32_16x16x32_i8 v[184:187], a[114:115], v[194:195], v[184:187]// 000000007C7C: D3D700B8 0EE38572
	v_mfma_i32_16x16x32_i8 v[184:187], a[116:117], v[196:197], v[184:187]// 000000007C84: D3D700B8 0EE38974
	v_mfma_i32_16x16x32_i8 v[184:187], a[118:119], v[198:199], v[184:187]// 000000007C8C: D3D700B8 0EE38D76
	v_mfma_i32_16x16x32_i8 v[184:187], a[120:121], v[200:201], v[184:187]// 000000007C94: D3D700B8 0EE39178
	buffer_load_dwordx4 a[244:247], v41, s[24:27], 0 offen offset:1024// 000000007C9C: E05C1400 8086F429
	v_mfma_i32_16x16x32_i8 v[184:187], a[122:123], v[202:203], v[184:187]// 000000007CA4: D3D700B8 0EE3957A
	v_mfma_i32_16x16x32_i8 v[184:187], a[124:125], v[204:205], v[184:187]// 000000007CAC: D3D700B8 0EE3997C
	v_mfma_i32_16x16x32_i8 v[184:187], a[126:127], v[206:207], v[184:187]// 000000007CB4: D3D700B8 0EE39D7E
	v_mfma_i32_16x16x32_i8 v[188:191], a[112:113], v[208:209], v[188:191]// 000000007CBC: D3D700BC 0EF3A170
	buffer_load_dwordx4 a[248:251], v41, s[24:27], 0 offen offset:2048// 000000007CC4: E05C1800 8086F829
	v_mfma_i32_16x16x32_i8 v[188:191], a[114:115], v[210:211], v[188:191]// 000000007CCC: D3D700BC 0EF3A572
	v_mfma_i32_16x16x32_i8 v[188:191], a[116:117], v[212:213], v[188:191]// 000000007CD4: D3D700BC 0EF3A974
	v_mfma_i32_16x16x32_i8 v[188:191], a[118:119], v[214:215], v[188:191]// 000000007CDC: D3D700BC 0EF3AD76
	v_mfma_i32_16x16x32_i8 v[188:191], a[120:121], v[216:217], v[188:191]// 000000007CE4: D3D700BC 0EF3B178
	buffer_load_dwordx4 a[252:255], v41, s[24:27], 0 offen offset:3072// 000000007CEC: E05C1C00 8086FC29
	v_mfma_i32_16x16x32_i8 v[188:191], a[122:123], v[218:219], v[188:191]// 000000007CF4: D3D700BC 0EF3B57A
	v_mfma_i32_16x16x32_i8 v[188:191], a[124:125], v[220:221], v[188:191]// 000000007CFC: D3D700BC 0EF3B97C
	v_mfma_i32_16x16x32_i8 v[188:191], a[126:127], v[222:223], v[188:191]// 000000007D04: D3D700BC 0EF3BD7E
	s_add_u32 s60, 0x300, s80                                  // 000000007D0C: 803C50FF 00000300
	s_cmp_lt_u32 s60, s81                                      // 000000007D14: BF0A513C
	s_cselect_b32 s57, s57, 0                                  // 000000007D18: 85398039
	s_add_u32 s60, 0x200, s80                                  // 000000007D1C: 803C50FF 00000200
	s_cmp_lt_u32 s60, s81                                      // 000000007D24: BF0A513C
	s_cselect_b32 s58, s58, 0                                  // 000000007D28: 853A803A
	s_add_u32 s20, s57, s20                                    // 000000007D2C: 80141439
	s_addc_u32 s21, 0, s21                                     // 000000007D30: 82151580
	s_add_u32 s24, s58, s24                                    // 000000007D34: 8018183A
	s_addc_u32 s25, 0, s25                                     // 000000007D38: 82191980
	s_addk_i32 s80, 0x100                                      // 000000007D3C: B7500100
	s_cmp_lt_i32 s80, s81                                      // 000000007D40: BF045150
	s_cbranch_scc0 label_1619                                  // 000000007D44: BF840187
	s_waitcnt vmcnt(24) lgkmcnt(0)                             // 000000007D48: BF8C4078
	s_barrier                                                  // 000000007D4C: BF8A0000
	v_mfma_i32_16x16x32_i8 v[128:131], a[128:129], v[224:225], v[128:131]// 000000007D50: D3D70080 0E03C180
	buffer_load_dwordx4 a[0:3], v34, s[24:27], 0 offen         // 000000007D58: E05C1000 80860022
	v_mfma_i32_16x16x32_i8 v[128:131], a[130:131], v[226:227], v[128:131]// 000000007D60: D3D70080 0E03C582
	v_mfma_i32_16x16x32_i8 v[128:131], a[132:133], v[228:229], v[128:131]// 000000007D68: D3D70080 0E03C984
	buffer_load_dword v26, s[20:23], 0 offen lds               // 000000007D70: E0511000 8005001A
	s_add_u32 m0, 0x100, s51                                   // 000000007D78: 807C33FF 00000100
	v_mfma_i32_16x16x32_i8 v[128:131], a[134:135], v[230:231], v[128:131]// 000000007D80: D3D70080 0E03CD86
	v_mfma_i32_16x16x32_i8 v[128:131], a[136:137], v[232:233], v[128:131]// 000000007D88: D3D70080 0E03D188
	buffer_load_dwordx4 a[4:7], v34, s[24:27], 0 offen offset:1024// 000000007D90: E05C1400 80860422
	v_mfma_i32_16x16x32_i8 v[128:131], a[138:139], v[234:235], v[128:131]// 000000007D98: D3D70080 0E03D58A
	v_mfma_i32_16x16x32_i8 v[128:131], a[140:141], v[236:237], v[128:131]// 000000007DA0: D3D70080 0E03D98C
	buffer_load_dword v27, s[20:23], 0 offen lds               // 000000007DA8: E0511000 8005001B
	s_add_u32 m0, 0x200, s51                                   // 000000007DB0: 807C33FF 00000200
	v_mfma_i32_16x16x32_i8 v[128:131], a[142:143], v[238:239], v[128:131]// 000000007DB8: D3D70080 0E03DD8E
	v_mfma_i32_16x16x32_i8 v[132:135], a[128:129], v[240:241], v[132:135]// 000000007DC0: D3D70084 0E13E180
	buffer_load_dwordx4 a[8:11], v34, s[24:27], 0 offen offset:2048// 000000007DC8: E05C1800 80860822
	v_mfma_i32_16x16x32_i8 v[132:135], a[130:131], v[242:243], v[132:135]// 000000007DD0: D3D70084 0E13E582
	v_mfma_i32_16x16x32_i8 v[132:135], a[132:133], v[244:245], v[132:135]// 000000007DD8: D3D70084 0E13E984
	buffer_load_dword v28, s[20:23], 0 offen lds               // 000000007DE0: E0511000 8005001C
	s_add_u32 m0, 0x300, s51                                   // 000000007DE8: 807C33FF 00000300
	v_mfma_i32_16x16x32_i8 v[132:135], a[134:135], v[246:247], v[132:135]// 000000007DF0: D3D70084 0E13ED86
	v_mfma_i32_16x16x32_i8 v[132:135], a[136:137], v[248:249], v[132:135]// 000000007DF8: D3D70084 0E13F188
	buffer_load_dwordx4 a[12:15], v34, s[24:27], 0 offen offset:3072// 000000007E00: E05C1C00 80860C22
	v_mfma_i32_16x16x32_i8 v[132:135], a[138:139], v[250:251], v[132:135]// 000000007E08: D3D70084 0E13F58A
	v_mfma_i32_16x16x32_i8 v[132:135], a[140:141], v[252:253], v[132:135]// 000000007E10: D3D70084 0E13F98C
	buffer_load_dword v29, s[20:23], 0 offen lds               // 000000007E18: E0511000 8005001D
	s_add_u32 m0, 0x400, s51                                   // 000000007E20: 807C33FF 00000400
	v_mfma_i32_16x16x32_i8 v[132:135], a[142:143], v[254:255], v[132:135]// 000000007E28: D3D70084 0E13FD8E
	v_mfma_i32_16x16x32_i8 v[136:139], a[144:145], v[224:225], v[136:139]// 000000007E30: D3D70088 0E23C190
	buffer_load_dwordx4 a[16:19], v35, s[24:27], 0 offen       // 000000007E38: E05C1000 80861023
	v_mfma_i32_16x16x32_i8 v[136:139], a[146:147], v[226:227], v[136:139]// 000000007E40: D3D70088 0E23C592
	v_mfma_i32_16x16x32_i8 v[136:139], a[148:149], v[228:229], v[136:139]// 000000007E48: D3D70088 0E23C994
	buffer_load_dword v30, s[20:23], 0 offen lds               // 000000007E50: E0511000 8005001E
	s_add_u32 m0, 0x500, s51                                   // 000000007E58: 807C33FF 00000500
	v_mfma_i32_16x16x32_i8 v[136:139], a[150:151], v[230:231], v[136:139]// 000000007E60: D3D70088 0E23CD96
	v_mfma_i32_16x16x32_i8 v[136:139], a[152:153], v[232:233], v[136:139]// 000000007E68: D3D70088 0E23D198
	buffer_load_dwordx4 a[20:23], v35, s[24:27], 0 offen offset:1024// 000000007E70: E05C1400 80861423
	v_mfma_i32_16x16x32_i8 v[136:139], a[154:155], v[234:235], v[136:139]// 000000007E78: D3D70088 0E23D59A
	v_mfma_i32_16x16x32_i8 v[136:139], a[156:157], v[236:237], v[136:139]// 000000007E80: D3D70088 0E23D99C
	buffer_load_dword v31, s[20:23], 0 offen lds               // 000000007E88: E0511000 8005001F
	s_add_u32 m0, 0x600, s51                                   // 000000007E90: 807C33FF 00000600
	v_mfma_i32_16x16x32_i8 v[136:139], a[158:159], v[238:239], v[136:139]// 000000007E98: D3D70088 0E23DD9E
	v_mfma_i32_16x16x32_i8 v[140:143], a[144:145], v[240:241], v[140:143]// 000000007EA0: D3D7008C 0E33E190
	buffer_load_dwordx4 a[24:27], v35, s[24:27], 0 offen offset:2048// 000000007EA8: E05C1800 80861823
	v_mfma_i32_16x16x32_i8 v[140:143], a[146:147], v[242:243], v[140:143]// 000000007EB0: D3D7008C 0E33E592
	v_mfma_i32_16x16x32_i8 v[140:143], a[148:149], v[244:245], v[140:143]// 000000007EB8: D3D7008C 0E33E994
	buffer_load_dword v32, s[20:23], 0 offen lds               // 000000007EC0: E0511000 80050020
	s_add_u32 m0, 0x700, s51                                   // 000000007EC8: 807C33FF 00000700
	v_mfma_i32_16x16x32_i8 v[140:143], a[150:151], v[246:247], v[140:143]// 000000007ED0: D3D7008C 0E33ED96
	v_mfma_i32_16x16x32_i8 v[140:143], a[152:153], v[248:249], v[140:143]// 000000007ED8: D3D7008C 0E33F198
	buffer_load_dwordx4 a[28:31], v35, s[24:27], 0 offen offset:3072// 000000007EE0: E05C1C00 80861C23
	v_mfma_i32_16x16x32_i8 v[140:143], a[154:155], v[250:251], v[140:143]// 000000007EE8: D3D7008C 0E33F59A
	v_mfma_i32_16x16x32_i8 v[140:143], a[156:157], v[252:253], v[140:143]// 000000007EF0: D3D7008C 0E33F99C
	buffer_load_dword v33, s[20:23], 0 offen lds               // 000000007EF8: E0511000 80050021
	s_add_u32 m0, 0, s50                                       // 000000007F00: 807C3280
	v_mfma_i32_16x16x32_i8 v[140:143], a[158:159], v[254:255], v[140:143]// 000000007F04: D3D7008C 0E33FD9E
	s_waitcnt vmcnt(36)                                        // 000000007F0C: BF8C8F74
	v_mfma_i32_16x16x32_i8 v[144:147], a[160:161], v[224:225], v[144:147]// 000000007F10: D3D70090 0E43C1A0
	buffer_load_dwordx4 a[32:35], v36, s[24:27], 0 offen       // 000000007F18: E05C1000 80862024
	v_mfma_i32_16x16x32_i8 v[144:147], a[162:163], v[226:227], v[144:147]// 000000007F20: D3D70090 0E43C5A2
	v_mfma_i32_16x16x32_i8 v[144:147], a[164:165], v[228:229], v[144:147]// 000000007F28: D3D70090 0E43C9A4
	ds_read_b128 v[192:195], v2                                // 000000007F30: D9FE0000 C0000002
	v_mfma_i32_16x16x32_i8 v[144:147], a[166:167], v[230:231], v[144:147]// 000000007F38: D3D70090 0E43CDA6
	v_mfma_i32_16x16x32_i8 v[144:147], a[168:169], v[232:233], v[144:147]// 000000007F40: D3D70090 0E43D1A8
	buffer_load_dwordx4 a[36:39], v36, s[24:27], 0 offen offset:1024// 000000007F48: E05C1400 80862424
	v_mfma_i32_16x16x32_i8 v[144:147], a[170:171], v[234:235], v[144:147]// 000000007F50: D3D70090 0E43D5AA
	v_mfma_i32_16x16x32_i8 v[144:147], a[172:173], v[236:237], v[144:147]// 000000007F58: D3D70090 0E43D9AC
	ds_read_b128 v[196:199], v2 offset:64                      // 000000007F60: D9FE0040 C4000002
	v_mfma_i32_16x16x32_i8 v[144:147], a[174:175], v[238:239], v[144:147]// 000000007F68: D3D70090 0E43DDAE
	v_mfma_i32_16x16x32_i8 v[148:151], a[160:161], v[240:241], v[148:151]// 000000007F70: D3D70094 0E53E1A0
	buffer_load_dwordx4 a[40:43], v36, s[24:27], 0 offen offset:2048// 000000007F78: E05C1800 80862824
	v_mfma_i32_16x16x32_i8 v[148:151], a[162:163], v[242:243], v[148:151]// 000000007F80: D3D70094 0E53E5A2
	v_mfma_i32_16x16x32_i8 v[148:151], a[164:165], v[244:245], v[148:151]// 000000007F88: D3D70094 0E53E9A4
	ds_read_b128 v[200:203], v2 offset:128                     // 000000007F90: D9FE0080 C8000002
	v_mfma_i32_16x16x32_i8 v[148:151], a[166:167], v[246:247], v[148:151]// 000000007F98: D3D70094 0E53EDA6
	v_mfma_i32_16x16x32_i8 v[148:151], a[168:169], v[248:249], v[148:151]// 000000007FA0: D3D70094 0E53F1A8
	buffer_load_dwordx4 a[44:47], v36, s[24:27], 0 offen offset:3072// 000000007FA8: E05C1C00 80862C24
	v_mfma_i32_16x16x32_i8 v[148:151], a[170:171], v[250:251], v[148:151]// 000000007FB0: D3D70094 0E53F5AA
	v_mfma_i32_16x16x32_i8 v[148:151], a[172:173], v[252:253], v[148:151]// 000000007FB8: D3D70094 0E53F9AC
	ds_read_b128 v[204:207], v2 offset:192                     // 000000007FC0: D9FE00C0 CC000002
	v_mfma_i32_16x16x32_i8 v[148:151], a[174:175], v[254:255], v[148:151]// 000000007FC8: D3D70094 0E53FDAE
	s_waitcnt vmcnt(36)                                        // 000000007FD0: BF8C8F74
	v_mfma_i32_16x16x32_i8 v[152:155], a[176:177], v[224:225], v[152:155]// 000000007FD4: D3D70098 0E63C1B0
	buffer_load_dwordx4 a[48:51], v37, s[24:27], 0 offen       // 000000007FDC: E05C1000 80863025
	v_mfma_i32_16x16x32_i8 v[152:155], a[178:179], v[226:227], v[152:155]// 000000007FE4: D3D70098 0E63C5B2
	v_mfma_i32_16x16x32_i8 v[152:155], a[180:181], v[228:229], v[152:155]// 000000007FEC: D3D70098 0E63C9B4
	ds_read_b128 v[208:211], v2 offset:1024                    // 000000007FF4: D9FE0400 D0000002
	v_mfma_i32_16x16x32_i8 v[152:155], a[182:183], v[230:231], v[152:155]// 000000007FFC: D3D70098 0E63CDB6
	v_mfma_i32_16x16x32_i8 v[152:155], a[184:185], v[232:233], v[152:155]// 000000008004: D3D70098 0E63D1B8
	buffer_load_dwordx4 a[52:55], v37, s[24:27], 0 offen offset:1024// 00000000800C: E05C1400 80863425
	v_mfma_i32_16x16x32_i8 v[152:155], a[186:187], v[234:235], v[152:155]// 000000008014: D3D70098 0E63D5BA
	v_mfma_i32_16x16x32_i8 v[152:155], a[188:189], v[236:237], v[152:155]// 00000000801C: D3D70098 0E63D9BC
	ds_read_b128 v[212:215], v2 offset:1088                    // 000000008024: D9FE0440 D4000002
	v_mfma_i32_16x16x32_i8 v[152:155], a[190:191], v[238:239], v[152:155]// 00000000802C: D3D70098 0E63DDBE
	v_mfma_i32_16x16x32_i8 v[156:159], a[176:177], v[240:241], v[156:159]// 000000008034: D3D7009C 0E73E1B0
	buffer_load_dwordx4 a[56:59], v37, s[24:27], 0 offen offset:2048// 00000000803C: E05C1800 80863825
	v_mfma_i32_16x16x32_i8 v[156:159], a[178:179], v[242:243], v[156:159]// 000000008044: D3D7009C 0E73E5B2
	v_mfma_i32_16x16x32_i8 v[156:159], a[180:181], v[244:245], v[156:159]// 00000000804C: D3D7009C 0E73E9B4
	ds_read_b128 v[216:219], v2 offset:1152                    // 000000008054: D9FE0480 D8000002
	v_mfma_i32_16x16x32_i8 v[156:159], a[182:183], v[246:247], v[156:159]// 00000000805C: D3D7009C 0E73EDB6
	v_mfma_i32_16x16x32_i8 v[156:159], a[184:185], v[248:249], v[156:159]// 000000008064: D3D7009C 0E73F1B8
	buffer_load_dwordx4 a[60:63], v37, s[24:27], 0 offen offset:3072// 00000000806C: E05C1C00 80863C25
	v_mfma_i32_16x16x32_i8 v[156:159], a[186:187], v[250:251], v[156:159]// 000000008074: D3D7009C 0E73F5BA
	v_mfma_i32_16x16x32_i8 v[156:159], a[188:189], v[252:253], v[156:159]// 00000000807C: D3D7009C 0E73F9BC
	ds_read_b128 v[220:223], v2 offset:1216                    // 000000008084: D9FE04C0 DC000002
	v_mfma_i32_16x16x32_i8 v[156:159], a[190:191], v[254:255], v[156:159]// 00000000808C: D3D7009C 0E73FDBE
	s_waitcnt vmcnt(36)                                        // 000000008094: BF8C8F74
	v_mfma_i32_16x16x32_i8 v[160:163], a[192:193], v[224:225], v[160:163]// 000000008098: D3D700A0 0E83C1C0
	buffer_load_dwordx4 a[64:67], v38, s[24:27], 0 offen       // 0000000080A0: E05C1000 80864026
	v_mfma_i32_16x16x32_i8 v[160:163], a[194:195], v[226:227], v[160:163]// 0000000080A8: D3D700A0 0E83C5C2
	v_mfma_i32_16x16x32_i8 v[160:163], a[196:197], v[228:229], v[160:163]// 0000000080B0: D3D700A0 0E83C9C4
	v_mfma_i32_16x16x32_i8 v[160:163], a[198:199], v[230:231], v[160:163]// 0000000080B8: D3D700A0 0E83CDC6
	v_mfma_i32_16x16x32_i8 v[160:163], a[200:201], v[232:233], v[160:163]// 0000000080C0: D3D700A0 0E83D1C8
	buffer_load_dwordx4 a[68:71], v38, s[24:27], 0 offen offset:1024// 0000000080C8: E05C1400 80864426
	v_mfma_i32_16x16x32_i8 v[160:163], a[202:203], v[234:235], v[160:163]// 0000000080D0: D3D700A0 0E83D5CA
	v_mfma_i32_16x16x32_i8 v[160:163], a[204:205], v[236:237], v[160:163]// 0000000080D8: D3D700A0 0E83D9CC
	v_mfma_i32_16x16x32_i8 v[160:163], a[206:207], v[238:239], v[160:163]// 0000000080E0: D3D700A0 0E83DDCE
	v_mfma_i32_16x16x32_i8 v[164:167], a[192:193], v[240:241], v[164:167]// 0000000080E8: D3D700A4 0E93E1C0
	buffer_load_dwordx4 a[72:75], v38, s[24:27], 0 offen offset:2048// 0000000080F0: E05C1800 80864826
	v_mfma_i32_16x16x32_i8 v[164:167], a[194:195], v[242:243], v[164:167]// 0000000080F8: D3D700A4 0E93E5C2
	v_mfma_i32_16x16x32_i8 v[164:167], a[196:197], v[244:245], v[164:167]// 000000008100: D3D700A4 0E93E9C4
	v_mfma_i32_16x16x32_i8 v[164:167], a[198:199], v[246:247], v[164:167]// 000000008108: D3D700A4 0E93EDC6
	v_mfma_i32_16x16x32_i8 v[164:167], a[200:201], v[248:249], v[164:167]// 000000008110: D3D700A4 0E93F1C8
	buffer_load_dwordx4 a[76:79], v38, s[24:27], 0 offen offset:3072// 000000008118: E05C1C00 80864C26
	v_mfma_i32_16x16x32_i8 v[164:167], a[202:203], v[250:251], v[164:167]// 000000008120: D3D700A4 0E93F5CA
	v_mfma_i32_16x16x32_i8 v[164:167], a[204:205], v[252:253], v[164:167]// 000000008128: D3D700A4 0E93F9CC
	v_mfma_i32_16x16x32_i8 v[164:167], a[206:207], v[254:255], v[164:167]// 000000008130: D3D700A4 0E93FDCE
	s_waitcnt vmcnt(36)                                        // 000000008138: BF8C8F74
	v_mfma_i32_16x16x32_i8 v[168:171], a[208:209], v[224:225], v[168:171]// 00000000813C: D3D700A8 0EA3C1D0
	buffer_load_dwordx4 a[80:83], v39, s[24:27], 0 offen       // 000000008144: E05C1000 80865027
	v_mfma_i32_16x16x32_i8 v[168:171], a[210:211], v[226:227], v[168:171]// 00000000814C: D3D700A8 0EA3C5D2
	v_mfma_i32_16x16x32_i8 v[168:171], a[212:213], v[228:229], v[168:171]// 000000008154: D3D700A8 0EA3C9D4
	v_mfma_i32_16x16x32_i8 v[168:171], a[214:215], v[230:231], v[168:171]// 00000000815C: D3D700A8 0EA3CDD6
	v_mfma_i32_16x16x32_i8 v[168:171], a[216:217], v[232:233], v[168:171]// 000000008164: D3D700A8 0EA3D1D8
	buffer_load_dwordx4 a[84:87], v39, s[24:27], 0 offen offset:1024// 00000000816C: E05C1400 80865427
	v_mfma_i32_16x16x32_i8 v[168:171], a[218:219], v[234:235], v[168:171]// 000000008174: D3D700A8 0EA3D5DA
	v_mfma_i32_16x16x32_i8 v[168:171], a[220:221], v[236:237], v[168:171]// 00000000817C: D3D700A8 0EA3D9DC
	v_mfma_i32_16x16x32_i8 v[168:171], a[222:223], v[238:239], v[168:171]// 000000008184: D3D700A8 0EA3DDDE
	v_mfma_i32_16x16x32_i8 v[172:175], a[208:209], v[240:241], v[172:175]// 00000000818C: D3D700AC 0EB3E1D0
	buffer_load_dwordx4 a[88:91], v39, s[24:27], 0 offen offset:2048// 000000008194: E05C1800 80865827
	v_mfma_i32_16x16x32_i8 v[172:175], a[210:211], v[242:243], v[172:175]// 00000000819C: D3D700AC 0EB3E5D2
	v_mfma_i32_16x16x32_i8 v[172:175], a[212:213], v[244:245], v[172:175]// 0000000081A4: D3D700AC 0EB3E9D4
	v_mfma_i32_16x16x32_i8 v[172:175], a[214:215], v[246:247], v[172:175]// 0000000081AC: D3D700AC 0EB3EDD6
	v_mfma_i32_16x16x32_i8 v[172:175], a[216:217], v[248:249], v[172:175]// 0000000081B4: D3D700AC 0EB3F1D8
	buffer_load_dwordx4 a[92:95], v39, s[24:27], 0 offen offset:3072// 0000000081BC: E05C1C00 80865C27
	v_mfma_i32_16x16x32_i8 v[172:175], a[218:219], v[250:251], v[172:175]// 0000000081C4: D3D700AC 0EB3F5DA
	v_mfma_i32_16x16x32_i8 v[172:175], a[220:221], v[252:253], v[172:175]// 0000000081CC: D3D700AC 0EB3F9DC
	v_mfma_i32_16x16x32_i8 v[172:175], a[222:223], v[254:255], v[172:175]// 0000000081D4: D3D700AC 0EB3FDDE
	s_waitcnt vmcnt(36)                                        // 0000000081DC: BF8C8F74
	v_mfma_i32_16x16x32_i8 v[176:179], a[224:225], v[224:225], v[176:179]// 0000000081E0: D3D700B0 0EC3C1E0
	buffer_load_dwordx4 a[96:99], v40, s[24:27], 0 offen       // 0000000081E8: E05C1000 80866028
	v_mfma_i32_16x16x32_i8 v[176:179], a[226:227], v[226:227], v[176:179]// 0000000081F0: D3D700B0 0EC3C5E2
	v_mfma_i32_16x16x32_i8 v[176:179], a[228:229], v[228:229], v[176:179]// 0000000081F8: D3D700B0 0EC3C9E4
	v_mfma_i32_16x16x32_i8 v[176:179], a[230:231], v[230:231], v[176:179]// 000000008200: D3D700B0 0EC3CDE6
	v_mfma_i32_16x16x32_i8 v[176:179], a[232:233], v[232:233], v[176:179]// 000000008208: D3D700B0 0EC3D1E8
	buffer_load_dwordx4 a[100:103], v40, s[24:27], 0 offen offset:1024// 000000008210: E05C1400 80866428
	v_mfma_i32_16x16x32_i8 v[176:179], a[234:235], v[234:235], v[176:179]// 000000008218: D3D700B0 0EC3D5EA
	v_mfma_i32_16x16x32_i8 v[176:179], a[236:237], v[236:237], v[176:179]// 000000008220: D3D700B0 0EC3D9EC
	v_mfma_i32_16x16x32_i8 v[176:179], a[238:239], v[238:239], v[176:179]// 000000008228: D3D700B0 0EC3DDEE
	v_mfma_i32_16x16x32_i8 v[180:183], a[224:225], v[240:241], v[180:183]// 000000008230: D3D700B4 0ED3E1E0
	buffer_load_dwordx4 a[104:107], v40, s[24:27], 0 offen offset:2048// 000000008238: E05C1800 80866828
	v_mfma_i32_16x16x32_i8 v[180:183], a[226:227], v[242:243], v[180:183]// 000000008240: D3D700B4 0ED3E5E2
	v_mfma_i32_16x16x32_i8 v[180:183], a[228:229], v[244:245], v[180:183]// 000000008248: D3D700B4 0ED3E9E4
	v_mfma_i32_16x16x32_i8 v[180:183], a[230:231], v[246:247], v[180:183]// 000000008250: D3D700B4 0ED3EDE6
	v_mfma_i32_16x16x32_i8 v[180:183], a[232:233], v[248:249], v[180:183]// 000000008258: D3D700B4 0ED3F1E8
	buffer_load_dwordx4 a[108:111], v40, s[24:27], 0 offen offset:3072// 000000008260: E05C1C00 80866C28
	v_mfma_i32_16x16x32_i8 v[180:183], a[234:235], v[250:251], v[180:183]// 000000008268: D3D700B4 0ED3F5EA
	v_mfma_i32_16x16x32_i8 v[180:183], a[236:237], v[252:253], v[180:183]// 000000008270: D3D700B4 0ED3F9EC
	v_mfma_i32_16x16x32_i8 v[180:183], a[238:239], v[254:255], v[180:183]// 000000008278: D3D700B4 0ED3FDEE
	s_waitcnt vmcnt(36)                                        // 000000008280: BF8C8F74
	v_mfma_i32_16x16x32_i8 v[184:187], a[240:241], v[224:225], v[184:187]// 000000008284: D3D700B8 0EE3C1F0
	buffer_load_dwordx4 a[112:115], v41, s[24:27], 0 offen     // 00000000828C: E05C1000 80867029
	v_mfma_i32_16x16x32_i8 v[184:187], a[242:243], v[226:227], v[184:187]// 000000008294: D3D700B8 0EE3C5F2
	v_mfma_i32_16x16x32_i8 v[184:187], a[244:245], v[228:229], v[184:187]// 00000000829C: D3D700B8 0EE3C9F4
	v_mfma_i32_16x16x32_i8 v[184:187], a[246:247], v[230:231], v[184:187]// 0000000082A4: D3D700B8 0EE3CDF6
	v_mfma_i32_16x16x32_i8 v[184:187], a[248:249], v[232:233], v[184:187]// 0000000082AC: D3D700B8 0EE3D1F8
	buffer_load_dwordx4 a[116:119], v41, s[24:27], 0 offen offset:1024// 0000000082B4: E05C1400 80867429
	v_mfma_i32_16x16x32_i8 v[184:187], a[250:251], v[234:235], v[184:187]// 0000000082BC: D3D700B8 0EE3D5FA
	v_mfma_i32_16x16x32_i8 v[184:187], a[252:253], v[236:237], v[184:187]// 0000000082C4: D3D700B8 0EE3D9FC
	v_mfma_i32_16x16x32_i8 v[184:187], a[254:255], v[238:239], v[184:187]// 0000000082CC: D3D700B8 0EE3DDFE
	v_mfma_i32_16x16x32_i8 v[188:191], a[240:241], v[240:241], v[188:191]// 0000000082D4: D3D700BC 0EF3E1F0
	buffer_load_dwordx4 a[120:123], v41, s[24:27], 0 offen offset:2048// 0000000082DC: E05C1800 80867829
	v_mfma_i32_16x16x32_i8 v[188:191], a[242:243], v[242:243], v[188:191]// 0000000082E4: D3D700BC 0EF3E5F2
	v_mfma_i32_16x16x32_i8 v[188:191], a[244:245], v[244:245], v[188:191]// 0000000082EC: D3D700BC 0EF3E9F4
	v_mfma_i32_16x16x32_i8 v[188:191], a[246:247], v[246:247], v[188:191]// 0000000082F4: D3D700BC 0EF3EDF6
	v_mfma_i32_16x16x32_i8 v[188:191], a[248:249], v[248:249], v[188:191]// 0000000082FC: D3D700BC 0EF3F1F8
	buffer_load_dwordx4 a[124:127], v41, s[24:27], 0 offen offset:3072// 000000008304: E05C1C00 80867C29
	v_mfma_i32_16x16x32_i8 v[188:191], a[250:251], v[250:251], v[188:191]// 00000000830C: D3D700BC 0EF3F5FA
	v_mfma_i32_16x16x32_i8 v[188:191], a[252:253], v[252:253], v[188:191]// 000000008314: D3D700BC 0EF3F9FC
	v_mfma_i32_16x16x32_i8 v[188:191], a[254:255], v[254:255], v[188:191]// 00000000831C: D3D700BC 0EF3FDFE
	s_add_u32 s60, 0x300, s80                                  // 000000008324: 803C50FF 00000300
	s_cmp_lt_u32 s60, s81                                      // 00000000832C: BF0A513C
	s_cselect_b32 s57, s57, 0                                  // 000000008330: 85398039
	s_add_u32 s60, 0x200, s80                                  // 000000008334: 803C50FF 00000200
	s_cmp_lt_u32 s60, s81                                      // 00000000833C: BF0A513C
	s_cselect_b32 s58, s58, 0                                  // 000000008340: 853A803A
	s_add_u32 s20, s57, s20                                    // 000000008344: 80141439
	s_addc_u32 s21, 0, s21                                     // 000000008348: 82151580
	s_add_u32 s24, s58, s24                                    // 00000000834C: 8018183A
	s_addc_u32 s25, 0, s25                                     // 000000008350: 82191980
	s_addk_i32 s80, 0x100                                      // 000000008354: B7500100
	s_cmp_lt_i32 s80, s81                                      // 000000008358: BF045150
	s_cbranch_scc0 label_1619                                  // 00000000835C: BF840001
	s_branch label_130C                                        // 000000008360: BF82FCF3

0000000000008364 <label_1619>:
	s_mov_b32 s36, -1                                          // 000000008364: BEA400C1
	s_mov_b32 s37, -1                                          // 000000008368: BEA500C1
	s_mov_b64 s[60:61], 0                                      // 00000000836C: BEBC0180
	s_cmp_lt_u32 s82, s66                                      // 000000008370: BF0A4252
	s_cselect_b64 s[20:21], s[36:37], s[60:61]                 // 000000008374: 85943C24
	s_cmp_lt_u32 s83, s66                                      // 000000008378: BF0A4253
	s_cselect_b64 s[22:23], s[36:37], s[60:61]                 // 00000000837C: 85963C24
	s_cmp_lt_u32 s84, s66                                      // 000000008380: BF0A4254
	s_cselect_b64 s[24:25], s[36:37], s[60:61]                 // 000000008384: 85983C24
	s_cmp_lt_u32 s85, s66                                      // 000000008388: BF0A4255
	s_cselect_b64 s[26:27], s[36:37], s[60:61]                 // 00000000838C: 859A3C24
	s_cmp_lt_u32 s86, s66                                      // 000000008390: BF0A4256
	s_cselect_b64 s[28:29], s[36:37], s[60:61]                 // 000000008394: 859C3C24
	s_cmp_lt_u32 s87, s66                                      // 000000008398: BF0A4257
	s_cselect_b64 s[30:31], s[36:37], s[60:61]                 // 00000000839C: 859E3C24
	s_cmp_lt_u32 s88, s66                                      // 0000000083A0: BF0A4258
	s_cselect_b64 s[32:33], s[36:37], s[60:61]                 // 0000000083A4: 85A03C24
	s_cmp_lt_u32 s89, s66                                      // 0000000083A8: BF0A4259
	s_cselect_b64 s[34:35], s[36:37], s[60:61]                 // 0000000083AC: 85A23C24
	v_cvt_f32_i32_e32 v128, v128                               // 0000000083B0: 7F000B80
	v_cvt_f32_i32_e32 v129, v129                               // 0000000083B4: 7F020B81
	v_cvt_f32_i32_e32 v130, v130                               // 0000000083B8: 7F040B82
	v_cvt_f32_i32_e32 v131, v131                               // 0000000083BC: 7F060B83
	v_mul_f32_e32 v128, v14, v128                              // 0000000083C0: 0B01010E
	v_mul_f32_e32 v129, v14, v129                              // 0000000083C4: 0B03030E
	v_mul_f32_e32 v130, v14, v130                              // 0000000083C8: 0B05050E
	v_mul_f32_e32 v131, v14, v131                              // 0000000083CC: 0B07070E
	v_mul_f32_dpp v128, v16, v128 row_newbcast:0 row_mask:0xf bank_mask:0xf// 0000000083D0: 0B0100FA FF015010
	v_mul_f32_dpp v129, v16, v129 row_newbcast:1 row_mask:0xf bank_mask:0xf// 0000000083D8: 0B0302FA FF015110
	v_mul_f32_dpp v130, v16, v130 row_newbcast:2 row_mask:0xf bank_mask:0xf// 0000000083E0: 0B0504FA FF015210
	v_mul_f32_dpp v131, v16, v131 row_newbcast:3 row_mask:0xf bank_mask:0xf// 0000000083E8: 0B0706FA FF015310
	v_cvt_f32_i32_e32 v132, v132                               // 0000000083F0: 7F080B84
	v_cvt_f32_i32_e32 v133, v133                               // 0000000083F4: 7F0A0B85
	v_cvt_f32_i32_e32 v134, v134                               // 0000000083F8: 7F0C0B86
	v_cvt_f32_i32_e32 v135, v135                               // 0000000083FC: 7F0E0B87
	v_mul_f32_e32 v132, v15, v132                              // 000000008400: 0B09090F
	v_mul_f32_e32 v133, v15, v133                              // 000000008404: 0B0B0B0F
	v_mul_f32_e32 v134, v15, v134                              // 000000008408: 0B0D0D0F
	v_mul_f32_e32 v135, v15, v135                              // 00000000840C: 0B0F0F0F
	v_mul_f32_dpp v132, v16, v132 row_newbcast:0 row_mask:0xf bank_mask:0xf// 000000008410: 0B0908FA FF015010
	v_mul_f32_dpp v133, v16, v133 row_newbcast:1 row_mask:0xf bank_mask:0xf// 000000008418: 0B0B0AFA FF015110
	v_mul_f32_dpp v134, v16, v134 row_newbcast:2 row_mask:0xf bank_mask:0xf// 000000008420: 0B0D0CFA FF015210
	v_mul_f32_dpp v135, v16, v135 row_newbcast:3 row_mask:0xf bank_mask:0xf// 000000008428: 0B0F0EFA FF015310
	v_cvt_f32_i32_e32 v136, v136                               // 000000008430: 7F100B88
	v_cvt_f32_i32_e32 v137, v137                               // 000000008434: 7F120B89
	v_cvt_f32_i32_e32 v138, v138                               // 000000008438: 7F140B8A
	v_cvt_f32_i32_e32 v139, v139                               // 00000000843C: 7F160B8B
	v_mul_f32_e32 v136, v14, v136                              // 000000008440: 0B11110E
	v_mul_f32_e32 v137, v14, v137                              // 000000008444: 0B13130E
	v_mul_f32_e32 v138, v14, v138                              // 000000008448: 0B15150E
	v_mul_f32_e32 v139, v14, v139                              // 00000000844C: 0B17170E
	v_mul_f32_dpp v136, v16, v136 row_newbcast:4 row_mask:0xf bank_mask:0xf// 000000008450: 0B1110FA FF015410
	v_mul_f32_dpp v137, v16, v137 row_newbcast:5 row_mask:0xf bank_mask:0xf// 000000008458: 0B1312FA FF015510
	v_mul_f32_dpp v138, v16, v138 row_newbcast:6 row_mask:0xf bank_mask:0xf// 000000008460: 0B1514FA FF015610
	v_mul_f32_dpp v139, v16, v139 row_newbcast:7 row_mask:0xf bank_mask:0xf// 000000008468: 0B1716FA FF015710
	v_cvt_f32_i32_e32 v140, v140                               // 000000008470: 7F180B8C
	v_cvt_f32_i32_e32 v141, v141                               // 000000008474: 7F1A0B8D
	v_cvt_f32_i32_e32 v142, v142                               // 000000008478: 7F1C0B8E
	v_cvt_f32_i32_e32 v143, v143                               // 00000000847C: 7F1E0B8F
	v_mul_f32_e32 v140, v15, v140                              // 000000008480: 0B19190F
	v_mul_f32_e32 v141, v15, v141                              // 000000008484: 0B1B1B0F
	v_mul_f32_e32 v142, v15, v142                              // 000000008488: 0B1D1D0F
	v_mul_f32_e32 v143, v15, v143                              // 00000000848C: 0B1F1F0F
	v_mul_f32_dpp v140, v16, v140 row_newbcast:4 row_mask:0xf bank_mask:0xf// 000000008490: 0B1918FA FF015410
	v_mul_f32_dpp v141, v16, v141 row_newbcast:5 row_mask:0xf bank_mask:0xf// 000000008498: 0B1B1AFA FF015510
	v_mul_f32_dpp v142, v16, v142 row_newbcast:6 row_mask:0xf bank_mask:0xf// 0000000084A0: 0B1D1CFA FF015610
	v_mul_f32_dpp v143, v16, v143 row_newbcast:7 row_mask:0xf bank_mask:0xf// 0000000084A8: 0B1F1EFA FF015710
	v_cvt_f32_i32_e32 v144, v144                               // 0000000084B0: 7F200B90
	v_cvt_f32_i32_e32 v145, v145                               // 0000000084B4: 7F220B91
	v_cvt_f32_i32_e32 v146, v146                               // 0000000084B8: 7F240B92
	v_cvt_f32_i32_e32 v147, v147                               // 0000000084BC: 7F260B93
	v_mul_f32_e32 v144, v14, v144                              // 0000000084C0: 0B21210E
	v_mul_f32_e32 v145, v14, v145                              // 0000000084C4: 0B23230E
	v_mul_f32_e32 v146, v14, v146                              // 0000000084C8: 0B25250E
	v_mul_f32_e32 v147, v14, v147                              // 0000000084CC: 0B27270E
	v_mul_f32_dpp v144, v16, v144 row_newbcast:8 row_mask:0xf bank_mask:0xf// 0000000084D0: 0B2120FA FF015810
	v_mul_f32_dpp v145, v16, v145 row_newbcast:9 row_mask:0xf bank_mask:0xf// 0000000084D8: 0B2322FA FF015910
	v_mul_f32_dpp v146, v16, v146 row_newbcast:10 row_mask:0xf bank_mask:0xf// 0000000084E0: 0B2524FA FF015A10
	v_mul_f32_dpp v147, v16, v147 row_newbcast:11 row_mask:0xf bank_mask:0xf// 0000000084E8: 0B2726FA FF015B10
	v_cvt_f32_i32_e32 v148, v148                               // 0000000084F0: 7F280B94
	v_cvt_f32_i32_e32 v149, v149                               // 0000000084F4: 7F2A0B95
	v_cvt_f32_i32_e32 v150, v150                               // 0000000084F8: 7F2C0B96
	v_cvt_f32_i32_e32 v151, v151                               // 0000000084FC: 7F2E0B97
	v_mul_f32_e32 v148, v15, v148                              // 000000008500: 0B29290F
	v_mul_f32_e32 v149, v15, v149                              // 000000008504: 0B2B2B0F
	v_mul_f32_e32 v150, v15, v150                              // 000000008508: 0B2D2D0F
	v_mul_f32_e32 v151, v15, v151                              // 00000000850C: 0B2F2F0F
	v_mul_f32_dpp v148, v16, v148 row_newbcast:8 row_mask:0xf bank_mask:0xf// 000000008510: 0B2928FA FF015810
	v_mul_f32_dpp v149, v16, v149 row_newbcast:9 row_mask:0xf bank_mask:0xf// 000000008518: 0B2B2AFA FF015910
	v_mul_f32_dpp v150, v16, v150 row_newbcast:10 row_mask:0xf bank_mask:0xf// 000000008520: 0B2D2CFA FF015A10
	v_mul_f32_dpp v151, v16, v151 row_newbcast:11 row_mask:0xf bank_mask:0xf// 000000008528: 0B2F2EFA FF015B10
	v_cvt_f32_i32_e32 v152, v152                               // 000000008530: 7F300B98
	v_cvt_f32_i32_e32 v153, v153                               // 000000008534: 7F320B99
	v_cvt_f32_i32_e32 v154, v154                               // 000000008538: 7F340B9A
	v_cvt_f32_i32_e32 v155, v155                               // 00000000853C: 7F360B9B
	v_mul_f32_e32 v152, v14, v152                              // 000000008540: 0B31310E
	v_mul_f32_e32 v153, v14, v153                              // 000000008544: 0B33330E
	v_mul_f32_e32 v154, v14, v154                              // 000000008548: 0B35350E
	v_mul_f32_e32 v155, v14, v155                              // 00000000854C: 0B37370E
	v_mul_f32_dpp v152, v16, v152 row_newbcast:12 row_mask:0xf bank_mask:0xf// 000000008550: 0B3130FA FF015C10
	v_mul_f32_dpp v153, v16, v153 row_newbcast:13 row_mask:0xf bank_mask:0xf// 000000008558: 0B3332FA FF015D10
	v_mul_f32_dpp v154, v16, v154 row_newbcast:14 row_mask:0xf bank_mask:0xf// 000000008560: 0B3534FA FF015E10
	v_mul_f32_dpp v155, v16, v155 row_newbcast:15 row_mask:0xf bank_mask:0xf// 000000008568: 0B3736FA FF015F10
	v_cvt_f32_i32_e32 v156, v156                               // 000000008570: 7F380B9C
	v_cvt_f32_i32_e32 v157, v157                               // 000000008574: 7F3A0B9D
	v_cvt_f32_i32_e32 v158, v158                               // 000000008578: 7F3C0B9E
	v_cvt_f32_i32_e32 v159, v159                               // 00000000857C: 7F3E0B9F
	v_mul_f32_e32 v156, v15, v156                              // 000000008580: 0B39390F
	v_mul_f32_e32 v157, v15, v157                              // 000000008584: 0B3B3B0F
	v_mul_f32_e32 v158, v15, v158                              // 000000008588: 0B3D3D0F
	v_mul_f32_e32 v159, v15, v159                              // 00000000858C: 0B3F3F0F
	v_mul_f32_dpp v156, v16, v156 row_newbcast:12 row_mask:0xf bank_mask:0xf// 000000008590: 0B3938FA FF015C10
	v_mul_f32_dpp v157, v16, v157 row_newbcast:13 row_mask:0xf bank_mask:0xf// 000000008598: 0B3B3AFA FF015D10
	v_mul_f32_dpp v158, v16, v158 row_newbcast:14 row_mask:0xf bank_mask:0xf// 0000000085A0: 0B3D3CFA FF015E10
	v_mul_f32_dpp v159, v16, v159 row_newbcast:15 row_mask:0xf bank_mask:0xf// 0000000085A8: 0B3F3EFA FF015F10
	v_cvt_f32_i32_e32 v160, v160                               // 0000000085B0: 7F400BA0
	v_cvt_f32_i32_e32 v161, v161                               // 0000000085B4: 7F420BA1
	v_cvt_f32_i32_e32 v162, v162                               // 0000000085B8: 7F440BA2
	v_cvt_f32_i32_e32 v163, v163                               // 0000000085BC: 7F460BA3
	v_mul_f32_e32 v160, v14, v160                              // 0000000085C0: 0B41410E
	v_mul_f32_e32 v161, v14, v161                              // 0000000085C4: 0B43430E
	v_mul_f32_e32 v162, v14, v162                              // 0000000085C8: 0B45450E
	v_mul_f32_e32 v163, v14, v163                              // 0000000085CC: 0B47470E
	v_mul_f32_dpp v160, v17, v160 row_newbcast:0 row_mask:0xf bank_mask:0xf// 0000000085D0: 0B4140FA FF015011
	v_mul_f32_dpp v161, v17, v161 row_newbcast:1 row_mask:0xf bank_mask:0xf// 0000000085D8: 0B4342FA FF015111
	v_mul_f32_dpp v162, v17, v162 row_newbcast:2 row_mask:0xf bank_mask:0xf// 0000000085E0: 0B4544FA FF015211
	v_mul_f32_dpp v163, v17, v163 row_newbcast:3 row_mask:0xf bank_mask:0xf// 0000000085E8: 0B4746FA FF015311
	v_cvt_f32_i32_e32 v164, v164                               // 0000000085F0: 7F480BA4
	v_cvt_f32_i32_e32 v165, v165                               // 0000000085F4: 7F4A0BA5
	v_cvt_f32_i32_e32 v166, v166                               // 0000000085F8: 7F4C0BA6
	v_cvt_f32_i32_e32 v167, v167                               // 0000000085FC: 7F4E0BA7
	v_mul_f32_e32 v164, v15, v164                              // 000000008600: 0B49490F
	v_mul_f32_e32 v165, v15, v165                              // 000000008604: 0B4B4B0F
	v_mul_f32_e32 v166, v15, v166                              // 000000008608: 0B4D4D0F
	v_mul_f32_e32 v167, v15, v167                              // 00000000860C: 0B4F4F0F
	v_mul_f32_dpp v164, v17, v164 row_newbcast:0 row_mask:0xf bank_mask:0xf// 000000008610: 0B4948FA FF015011
	v_mul_f32_dpp v165, v17, v165 row_newbcast:1 row_mask:0xf bank_mask:0xf// 000000008618: 0B4B4AFA FF015111
	v_mul_f32_dpp v166, v17, v166 row_newbcast:2 row_mask:0xf bank_mask:0xf// 000000008620: 0B4D4CFA FF015211
	v_mul_f32_dpp v167, v17, v167 row_newbcast:3 row_mask:0xf bank_mask:0xf// 000000008628: 0B4F4EFA FF015311
	v_cvt_f32_i32_e32 v168, v168                               // 000000008630: 7F500BA8
	v_cvt_f32_i32_e32 v169, v169                               // 000000008634: 7F520BA9
	v_cvt_f32_i32_e32 v170, v170                               // 000000008638: 7F540BAA
	v_cvt_f32_i32_e32 v171, v171                               // 00000000863C: 7F560BAB
	v_mul_f32_e32 v168, v14, v168                              // 000000008640: 0B51510E
	v_mul_f32_e32 v169, v14, v169                              // 000000008644: 0B53530E
	v_mul_f32_e32 v170, v14, v170                              // 000000008648: 0B55550E
	v_mul_f32_e32 v171, v14, v171                              // 00000000864C: 0B57570E
	v_mul_f32_dpp v168, v17, v168 row_newbcast:4 row_mask:0xf bank_mask:0xf// 000000008650: 0B5150FA FF015411
	v_mul_f32_dpp v169, v17, v169 row_newbcast:5 row_mask:0xf bank_mask:0xf// 000000008658: 0B5352FA FF015511
	v_mul_f32_dpp v170, v17, v170 row_newbcast:6 row_mask:0xf bank_mask:0xf// 000000008660: 0B5554FA FF015611
	v_mul_f32_dpp v171, v17, v171 row_newbcast:7 row_mask:0xf bank_mask:0xf// 000000008668: 0B5756FA FF015711
	v_cvt_f32_i32_e32 v172, v172                               // 000000008670: 7F580BAC
	v_cvt_f32_i32_e32 v173, v173                               // 000000008674: 7F5A0BAD
	v_cvt_f32_i32_e32 v174, v174                               // 000000008678: 7F5C0BAE
	v_cvt_f32_i32_e32 v175, v175                               // 00000000867C: 7F5E0BAF
	v_mul_f32_e32 v172, v15, v172                              // 000000008680: 0B59590F
	v_mul_f32_e32 v173, v15, v173                              // 000000008684: 0B5B5B0F
	v_mul_f32_e32 v174, v15, v174                              // 000000008688: 0B5D5D0F
	v_mul_f32_e32 v175, v15, v175                              // 00000000868C: 0B5F5F0F
	v_mul_f32_dpp v172, v17, v172 row_newbcast:4 row_mask:0xf bank_mask:0xf// 000000008690: 0B5958FA FF015411
	v_mul_f32_dpp v173, v17, v173 row_newbcast:5 row_mask:0xf bank_mask:0xf// 000000008698: 0B5B5AFA FF015511
	v_mul_f32_dpp v174, v17, v174 row_newbcast:6 row_mask:0xf bank_mask:0xf// 0000000086A0: 0B5D5CFA FF015611
	v_mul_f32_dpp v175, v17, v175 row_newbcast:7 row_mask:0xf bank_mask:0xf// 0000000086A8: 0B5F5EFA FF015711
	v_cvt_f32_i32_e32 v176, v176                               // 0000000086B0: 7F600BB0
	v_cvt_f32_i32_e32 v177, v177                               // 0000000086B4: 7F620BB1
	v_cvt_f32_i32_e32 v178, v178                               // 0000000086B8: 7F640BB2
	v_cvt_f32_i32_e32 v179, v179                               // 0000000086BC: 7F660BB3
	v_mul_f32_e32 v176, v14, v176                              // 0000000086C0: 0B61610E
	v_mul_f32_e32 v177, v14, v177                              // 0000000086C4: 0B63630E
	v_mul_f32_e32 v178, v14, v178                              // 0000000086C8: 0B65650E
	v_mul_f32_e32 v179, v14, v179                              // 0000000086CC: 0B67670E
	v_mul_f32_dpp v176, v17, v176 row_newbcast:8 row_mask:0xf bank_mask:0xf// 0000000086D0: 0B6160FA FF015811
	v_mul_f32_dpp v177, v17, v177 row_newbcast:9 row_mask:0xf bank_mask:0xf// 0000000086D8: 0B6362FA FF015911
	v_mul_f32_dpp v178, v17, v178 row_newbcast:10 row_mask:0xf bank_mask:0xf// 0000000086E0: 0B6564FA FF015A11
	v_mul_f32_dpp v179, v17, v179 row_newbcast:11 row_mask:0xf bank_mask:0xf// 0000000086E8: 0B6766FA FF015B11
	v_cvt_f32_i32_e32 v180, v180                               // 0000000086F0: 7F680BB4
	v_cvt_f32_i32_e32 v181, v181                               // 0000000086F4: 7F6A0BB5
	v_cvt_f32_i32_e32 v182, v182                               // 0000000086F8: 7F6C0BB6
	v_cvt_f32_i32_e32 v183, v183                               // 0000000086FC: 7F6E0BB7
	v_mul_f32_e32 v180, v15, v180                              // 000000008700: 0B69690F
	v_mul_f32_e32 v181, v15, v181                              // 000000008704: 0B6B6B0F
	v_mul_f32_e32 v182, v15, v182                              // 000000008708: 0B6D6D0F
	v_mul_f32_e32 v183, v15, v183                              // 00000000870C: 0B6F6F0F
	v_mul_f32_dpp v180, v17, v180 row_newbcast:8 row_mask:0xf bank_mask:0xf// 000000008710: 0B6968FA FF015811
	v_mul_f32_dpp v181, v17, v181 row_newbcast:9 row_mask:0xf bank_mask:0xf// 000000008718: 0B6B6AFA FF015911
	v_mul_f32_dpp v182, v17, v182 row_newbcast:10 row_mask:0xf bank_mask:0xf// 000000008720: 0B6D6CFA FF015A11
	v_mul_f32_dpp v183, v17, v183 row_newbcast:11 row_mask:0xf bank_mask:0xf// 000000008728: 0B6F6EFA FF015B11
	v_cvt_f32_i32_e32 v184, v184                               // 000000008730: 7F700BB8
	v_cvt_f32_i32_e32 v185, v185                               // 000000008734: 7F720BB9
	v_cvt_f32_i32_e32 v186, v186                               // 000000008738: 7F740BBA
	v_cvt_f32_i32_e32 v187, v187                               // 00000000873C: 7F760BBB
	v_mul_f32_e32 v184, v14, v184                              // 000000008740: 0B71710E
	v_mul_f32_e32 v185, v14, v185                              // 000000008744: 0B73730E
	v_mul_f32_e32 v186, v14, v186                              // 000000008748: 0B75750E
	v_mul_f32_e32 v187, v14, v187                              // 00000000874C: 0B77770E
	v_mul_f32_dpp v184, v17, v184 row_newbcast:12 row_mask:0xf bank_mask:0xf// 000000008750: 0B7170FA FF015C11
	v_mul_f32_dpp v185, v17, v185 row_newbcast:13 row_mask:0xf bank_mask:0xf// 000000008758: 0B7372FA FF015D11
	v_mul_f32_dpp v186, v17, v186 row_newbcast:14 row_mask:0xf bank_mask:0xf// 000000008760: 0B7574FA FF015E11
	v_mul_f32_dpp v187, v17, v187 row_newbcast:15 row_mask:0xf bank_mask:0xf// 000000008768: 0B7776FA FF015F11
	v_cvt_f32_i32_e32 v188, v188                               // 000000008770: 7F780BBC
	v_cvt_f32_i32_e32 v189, v189                               // 000000008774: 7F7A0BBD
	v_cvt_f32_i32_e32 v190, v190                               // 000000008778: 7F7C0BBE
	v_cvt_f32_i32_e32 v191, v191                               // 00000000877C: 7F7E0BBF
	v_mul_f32_e32 v188, v15, v188                              // 000000008780: 0B79790F
	v_mul_f32_e32 v189, v15, v189                              // 000000008784: 0B7B7B0F
	v_mul_f32_e32 v190, v15, v190                              // 000000008788: 0B7D7D0F
	v_mul_f32_e32 v191, v15, v191                              // 00000000878C: 0B7F7F0F
	v_mul_f32_dpp v188, v17, v188 row_newbcast:12 row_mask:0xf bank_mask:0xf// 000000008790: 0B7978FA FF015C11
	v_mul_f32_dpp v189, v17, v189 row_newbcast:13 row_mask:0xf bank_mask:0xf// 000000008798: 0B7B7AFA FF015D11
	v_mul_f32_dpp v190, v17, v190 row_newbcast:14 row_mask:0xf bank_mask:0xf// 0000000087A0: 0B7D7CFA FF015E11
	v_mul_f32_dpp v191, v17, v191 row_newbcast:15 row_mask:0xf bank_mask:0xf// 0000000087A8: 0B7F7EFA FF015F11
	s_waitcnt vmcnt(28)                                        // 0000000087B0: BF8C4F7C
	buffer_load_dwordx4 a[0:3], v42, s[12:15], 0 offen         // 0000000087B4: E05C1000 8083002A
	v_mul_f32_e32 v50, v128, v128                              // 0000000087BC: 0A650180
	v_mul_f32_e32 v51, v129, v129                              // 0000000087C0: 0A670381
	v_mul_f32_e32 v52, v130, v130                              // 0000000087C4: 0A690582
	v_mul_f32_e32 v53, v131, v131                              // 0000000087C8: 0A6B0783
	v_fma_f32 v50, v50, s77, v1                                // 0000000087CC: D1CB0032 04049B32
	v_fma_f32 v51, v51, s77, v1                                // 0000000087D4: D1CB0033 04049B33
	v_fma_f32 v52, v52, s77, v1                                // 0000000087DC: D1CB0034 04049B34
	v_fma_f32 v53, v53, s77, v1                                // 0000000087E4: D1CB0035 04049B35
	v_mul_f32_e32 v50, v50, v128                               // 0000000087EC: 0A650132
	v_mul_f32_e32 v51, v51, v129                               // 0000000087F0: 0A670333
	v_mul_f32_e32 v52, v52, v130                               // 0000000087F4: 0A690534
	v_mul_f32_e32 v53, v53, v131                               // 0000000087F8: 0A6B0735
	v_mul_f32_e64 v50, v50, s6                                 // 0000000087FC: D1050032 00000D32
	v_mul_f32_e64 v51, v51, s6                                 // 000000008804: D1050033 00000D33
	v_mul_f32_e64 v52, v52, s6                                 // 00000000880C: D1050034 00000D34
	v_mul_f32_e64 v53, v53, s6                                 // 000000008814: D1050035 00000D35
	v_exp_f32_e32 v50, v50                                     // 00000000881C: 7E644132
	v_exp_f32_e32 v51, v51                                     // 000000008820: 7E664133
	v_exp_f32_e32 v52, v52                                     // 000000008824: 7E684134
	v_exp_f32_e32 v53, v53                                     // 000000008828: 7E6A4135
	buffer_load_dwordx4 a[4:7], v43, s[12:15], 0 offen         // 00000000882C: E05C1000 8083042B
	v_add_f32_e64 v50, v50, 1.0                                // 000000008834: D1010032 0001E532
	v_add_f32_e64 v51, v51, 1.0                                // 00000000883C: D1010033 0001E533
	v_add_f32_e64 v52, v52, 1.0                                // 000000008844: D1010034 0001E534
	v_add_f32_e64 v53, v53, 1.0                                // 00000000884C: D1010035 0001E535
	v_rcp_f32_e32 v50, v50                                     // 000000008854: 7E644532
	v_rcp_f32_e32 v51, v51                                     // 000000008858: 7E664533
	v_rcp_f32_e32 v52, v52                                     // 00000000885C: 7E684534
	v_rcp_f32_e32 v53, v53                                     // 000000008860: 7E6A4535
	v_mul_f32_e32 v128, v128, v50                              // 000000008864: 0B006580
	v_mul_f32_e32 v129, v129, v51                              // 000000008868: 0B026781
	v_mul_f32_e32 v130, v130, v52                              // 00000000886C: 0B046982
	v_mul_f32_e32 v131, v131, v53                              // 000000008870: 0B066B83
	buffer_load_dwordx4 a[8:11], v44, s[12:15], 0 offen        // 000000008874: E05C1000 8083082C
	v_mul_f32_e32 v50, v132, v132                              // 00000000887C: 0A650984
	v_mul_f32_e32 v51, v133, v133                              // 000000008880: 0A670B85
	v_mul_f32_e32 v52, v134, v134                              // 000000008884: 0A690D86
	v_mul_f32_e32 v53, v135, v135                              // 000000008888: 0A6B0F87
	v_fma_f32 v50, v50, s77, v1                                // 00000000888C: D1CB0032 04049B32
	v_fma_f32 v51, v51, s77, v1                                // 000000008894: D1CB0033 04049B33
	v_fma_f32 v52, v52, s77, v1                                // 00000000889C: D1CB0034 04049B34
	v_fma_f32 v53, v53, s77, v1                                // 0000000088A4: D1CB0035 04049B35
	v_mul_f32_e32 v50, v50, v132                               // 0000000088AC: 0A650932
	v_mul_f32_e32 v51, v51, v133                               // 0000000088B0: 0A670B33
	v_mul_f32_e32 v52, v52, v134                               // 0000000088B4: 0A690D34
	v_mul_f32_e32 v53, v53, v135                               // 0000000088B8: 0A6B0F35
	v_mul_f32_e64 v50, v50, s6                                 // 0000000088BC: D1050032 00000D32
	v_mul_f32_e64 v51, v51, s6                                 // 0000000088C4: D1050033 00000D33
	v_mul_f32_e64 v52, v52, s6                                 // 0000000088CC: D1050034 00000D34
	v_mul_f32_e64 v53, v53, s6                                 // 0000000088D4: D1050035 00000D35
	v_exp_f32_e32 v50, v50                                     // 0000000088DC: 7E644132
	v_exp_f32_e32 v51, v51                                     // 0000000088E0: 7E664133
	v_exp_f32_e32 v52, v52                                     // 0000000088E4: 7E684134
	v_exp_f32_e32 v53, v53                                     // 0000000088E8: 7E6A4135
	buffer_load_dwordx4 a[12:15], v45, s[12:15], 0 offen       // 0000000088EC: E05C1000 80830C2D
	s_add_u32 s12, s78, s12                                    // 0000000088F4: 800C0C4E
	s_addc_u32 s13, 0, s13                                     // 0000000088F8: 820D0D80
	v_add_f32_e64 v50, v50, 1.0                                // 0000000088FC: D1010032 0001E532
	v_add_f32_e64 v51, v51, 1.0                                // 000000008904: D1010033 0001E533
	v_add_f32_e64 v52, v52, 1.0                                // 00000000890C: D1010034 0001E534
	v_add_f32_e64 v53, v53, 1.0                                // 000000008914: D1010035 0001E535
	v_rcp_f32_e32 v50, v50                                     // 00000000891C: 7E644532
	v_rcp_f32_e32 v51, v51                                     // 000000008920: 7E664533
	v_rcp_f32_e32 v52, v52                                     // 000000008924: 7E684534
	v_rcp_f32_e32 v53, v53                                     // 000000008928: 7E6A4535
	v_mul_f32_e32 v132, v132, v50                              // 00000000892C: 0B086584
	v_mul_f32_e32 v133, v133, v51                              // 000000008930: 0B0A6785
	v_mul_f32_e32 v134, v134, v52                              // 000000008934: 0B0C6986
	v_mul_f32_e32 v135, v135, v53                              // 000000008938: 0B0E6B87
	s_waitcnt vmcnt(28)                                        // 00000000893C: BF8C4F7C
	buffer_load_dwordx4 a[16:19], v42, s[12:15], 0 offen       // 000000008940: E05C1000 8083102A
	v_mul_f32_e32 v50, v136, v136                              // 000000008948: 0A651188
	v_mul_f32_e32 v51, v137, v137                              // 00000000894C: 0A671389
	v_mul_f32_e32 v52, v138, v138                              // 000000008950: 0A69158A
	v_mul_f32_e32 v53, v139, v139                              // 000000008954: 0A6B178B
	v_fma_f32 v50, v50, s77, v1                                // 000000008958: D1CB0032 04049B32
	v_fma_f32 v51, v51, s77, v1                                // 000000008960: D1CB0033 04049B33
	v_fma_f32 v52, v52, s77, v1                                // 000000008968: D1CB0034 04049B34
	v_fma_f32 v53, v53, s77, v1                                // 000000008970: D1CB0035 04049B35
	v_mul_f32_e32 v50, v50, v136                               // 000000008978: 0A651132
	v_mul_f32_e32 v51, v51, v137                               // 00000000897C: 0A671333
	v_mul_f32_e32 v52, v52, v138                               // 000000008980: 0A691534
	v_mul_f32_e32 v53, v53, v139                               // 000000008984: 0A6B1735
	v_mul_f32_e64 v50, v50, s6                                 // 000000008988: D1050032 00000D32
	v_mul_f32_e64 v51, v51, s6                                 // 000000008990: D1050033 00000D33
	v_mul_f32_e64 v52, v52, s6                                 // 000000008998: D1050034 00000D34
	v_mul_f32_e64 v53, v53, s6                                 // 0000000089A0: D1050035 00000D35
	v_exp_f32_e32 v50, v50                                     // 0000000089A8: 7E644132
	v_exp_f32_e32 v51, v51                                     // 0000000089AC: 7E664133
	v_exp_f32_e32 v52, v52                                     // 0000000089B0: 7E684134
	v_exp_f32_e32 v53, v53                                     // 0000000089B4: 7E6A4135
	buffer_load_dwordx4 a[20:23], v43, s[12:15], 0 offen       // 0000000089B8: E05C1000 8083142B
	v_add_f32_e64 v50, v50, 1.0                                // 0000000089C0: D1010032 0001E532
	v_add_f32_e64 v51, v51, 1.0                                // 0000000089C8: D1010033 0001E533
	v_add_f32_e64 v52, v52, 1.0                                // 0000000089D0: D1010034 0001E534
	v_add_f32_e64 v53, v53, 1.0                                // 0000000089D8: D1010035 0001E535
	v_rcp_f32_e32 v50, v50                                     // 0000000089E0: 7E644532
	v_rcp_f32_e32 v51, v51                                     // 0000000089E4: 7E664533
	v_rcp_f32_e32 v52, v52                                     // 0000000089E8: 7E684534
	v_rcp_f32_e32 v53, v53                                     // 0000000089EC: 7E6A4535
	v_mul_f32_e32 v136, v136, v50                              // 0000000089F0: 0B106588
	v_mul_f32_e32 v137, v137, v51                              // 0000000089F4: 0B126789
	v_mul_f32_e32 v138, v138, v52                              // 0000000089F8: 0B14698A
	v_mul_f32_e32 v139, v139, v53                              // 0000000089FC: 0B166B8B
	buffer_load_dwordx4 a[24:27], v44, s[12:15], 0 offen       // 000000008A00: E05C1000 8083182C
	v_mul_f32_e32 v50, v140, v140                              // 000000008A08: 0A65198C
	v_mul_f32_e32 v51, v141, v141                              // 000000008A0C: 0A671B8D
	v_mul_f32_e32 v52, v142, v142                              // 000000008A10: 0A691D8E
	v_mul_f32_e32 v53, v143, v143                              // 000000008A14: 0A6B1F8F
	v_fma_f32 v50, v50, s77, v1                                // 000000008A18: D1CB0032 04049B32
	v_fma_f32 v51, v51, s77, v1                                // 000000008A20: D1CB0033 04049B33
	v_fma_f32 v52, v52, s77, v1                                // 000000008A28: D1CB0034 04049B34
	v_fma_f32 v53, v53, s77, v1                                // 000000008A30: D1CB0035 04049B35
	v_mul_f32_e32 v50, v50, v140                               // 000000008A38: 0A651932
	v_mul_f32_e32 v51, v51, v141                               // 000000008A3C: 0A671B33
	v_mul_f32_e32 v52, v52, v142                               // 000000008A40: 0A691D34
	v_mul_f32_e32 v53, v53, v143                               // 000000008A44: 0A6B1F35
	v_mul_f32_e64 v50, v50, s6                                 // 000000008A48: D1050032 00000D32
	v_mul_f32_e64 v51, v51, s6                                 // 000000008A50: D1050033 00000D33
	v_mul_f32_e64 v52, v52, s6                                 // 000000008A58: D1050034 00000D34
	v_mul_f32_e64 v53, v53, s6                                 // 000000008A60: D1050035 00000D35
	v_exp_f32_e32 v50, v50                                     // 000000008A68: 7E644132
	v_exp_f32_e32 v51, v51                                     // 000000008A6C: 7E664133
	v_exp_f32_e32 v52, v52                                     // 000000008A70: 7E684134
	v_exp_f32_e32 v53, v53                                     // 000000008A74: 7E6A4135
	buffer_load_dwordx4 a[28:31], v45, s[12:15], 0 offen       // 000000008A78: E05C1000 80831C2D
	s_add_u32 s12, s78, s12                                    // 000000008A80: 800C0C4E
	s_addc_u32 s13, 0, s13                                     // 000000008A84: 820D0D80
	v_add_f32_e64 v50, v50, 1.0                                // 000000008A88: D1010032 0001E532
	v_add_f32_e64 v51, v51, 1.0                                // 000000008A90: D1010033 0001E533
	v_add_f32_e64 v52, v52, 1.0                                // 000000008A98: D1010034 0001E534
	v_add_f32_e64 v53, v53, 1.0                                // 000000008AA0: D1010035 0001E535
	v_rcp_f32_e32 v50, v50                                     // 000000008AA8: 7E644532
	v_rcp_f32_e32 v51, v51                                     // 000000008AAC: 7E664533
	v_rcp_f32_e32 v52, v52                                     // 000000008AB0: 7E684534
	v_rcp_f32_e32 v53, v53                                     // 000000008AB4: 7E6A4535
	v_mul_f32_e32 v140, v140, v50                              // 000000008AB8: 0B18658C
	v_mul_f32_e32 v141, v141, v51                              // 000000008ABC: 0B1A678D
	v_mul_f32_e32 v142, v142, v52                              // 000000008AC0: 0B1C698E
	v_mul_f32_e32 v143, v143, v53                              // 000000008AC4: 0B1E6B8F
	s_waitcnt vmcnt(28)                                        // 000000008AC8: BF8C4F7C
	buffer_load_dwordx4 a[32:35], v42, s[12:15], 0 offen       // 000000008ACC: E05C1000 8083202A
	v_mul_f32_e32 v50, v144, v144                              // 000000008AD4: 0A652190
	v_mul_f32_e32 v51, v145, v145                              // 000000008AD8: 0A672391
	v_mul_f32_e32 v52, v146, v146                              // 000000008ADC: 0A692592
	v_mul_f32_e32 v53, v147, v147                              // 000000008AE0: 0A6B2793
	v_fma_f32 v50, v50, s77, v1                                // 000000008AE4: D1CB0032 04049B32
	v_fma_f32 v51, v51, s77, v1                                // 000000008AEC: D1CB0033 04049B33
	v_fma_f32 v52, v52, s77, v1                                // 000000008AF4: D1CB0034 04049B34
	v_fma_f32 v53, v53, s77, v1                                // 000000008AFC: D1CB0035 04049B35
	v_mul_f32_e32 v50, v50, v144                               // 000000008B04: 0A652132
	v_mul_f32_e32 v51, v51, v145                               // 000000008B08: 0A672333
	v_mul_f32_e32 v52, v52, v146                               // 000000008B0C: 0A692534
	v_mul_f32_e32 v53, v53, v147                               // 000000008B10: 0A6B2735
	v_mul_f32_e64 v50, v50, s6                                 // 000000008B14: D1050032 00000D32
	v_mul_f32_e64 v51, v51, s6                                 // 000000008B1C: D1050033 00000D33
	v_mul_f32_e64 v52, v52, s6                                 // 000000008B24: D1050034 00000D34
	v_mul_f32_e64 v53, v53, s6                                 // 000000008B2C: D1050035 00000D35
	v_exp_f32_e32 v50, v50                                     // 000000008B34: 7E644132
	v_exp_f32_e32 v51, v51                                     // 000000008B38: 7E664133
	v_exp_f32_e32 v52, v52                                     // 000000008B3C: 7E684134
	v_exp_f32_e32 v53, v53                                     // 000000008B40: 7E6A4135
	buffer_load_dwordx4 a[36:39], v43, s[12:15], 0 offen       // 000000008B44: E05C1000 8083242B
	v_add_f32_e64 v50, v50, 1.0                                // 000000008B4C: D1010032 0001E532
	v_add_f32_e64 v51, v51, 1.0                                // 000000008B54: D1010033 0001E533
	v_add_f32_e64 v52, v52, 1.0                                // 000000008B5C: D1010034 0001E534
	v_add_f32_e64 v53, v53, 1.0                                // 000000008B64: D1010035 0001E535
	v_rcp_f32_e32 v50, v50                                     // 000000008B6C: 7E644532
	v_rcp_f32_e32 v51, v51                                     // 000000008B70: 7E664533
	v_rcp_f32_e32 v52, v52                                     // 000000008B74: 7E684534
	v_rcp_f32_e32 v53, v53                                     // 000000008B78: 7E6A4535
	v_mul_f32_e32 v144, v144, v50                              // 000000008B7C: 0B206590
	v_mul_f32_e32 v145, v145, v51                              // 000000008B80: 0B226791
	v_mul_f32_e32 v146, v146, v52                              // 000000008B84: 0B246992
	v_mul_f32_e32 v147, v147, v53                              // 000000008B88: 0B266B93
	buffer_load_dwordx4 a[40:43], v44, s[12:15], 0 offen       // 000000008B8C: E05C1000 8083282C
	v_mul_f32_e32 v50, v148, v148                              // 000000008B94: 0A652994
	v_mul_f32_e32 v51, v149, v149                              // 000000008B98: 0A672B95
	v_mul_f32_e32 v52, v150, v150                              // 000000008B9C: 0A692D96
	v_mul_f32_e32 v53, v151, v151                              // 000000008BA0: 0A6B2F97
	v_fma_f32 v50, v50, s77, v1                                // 000000008BA4: D1CB0032 04049B32
	v_fma_f32 v51, v51, s77, v1                                // 000000008BAC: D1CB0033 04049B33
	v_fma_f32 v52, v52, s77, v1                                // 000000008BB4: D1CB0034 04049B34
	v_fma_f32 v53, v53, s77, v1                                // 000000008BBC: D1CB0035 04049B35
	v_mul_f32_e32 v50, v50, v148                               // 000000008BC4: 0A652932
	v_mul_f32_e32 v51, v51, v149                               // 000000008BC8: 0A672B33
	v_mul_f32_e32 v52, v52, v150                               // 000000008BCC: 0A692D34
	v_mul_f32_e32 v53, v53, v151                               // 000000008BD0: 0A6B2F35
	v_mul_f32_e64 v50, v50, s6                                 // 000000008BD4: D1050032 00000D32
	v_mul_f32_e64 v51, v51, s6                                 // 000000008BDC: D1050033 00000D33
	v_mul_f32_e64 v52, v52, s6                                 // 000000008BE4: D1050034 00000D34
	v_mul_f32_e64 v53, v53, s6                                 // 000000008BEC: D1050035 00000D35
	v_exp_f32_e32 v50, v50                                     // 000000008BF4: 7E644132
	v_exp_f32_e32 v51, v51                                     // 000000008BF8: 7E664133
	v_exp_f32_e32 v52, v52                                     // 000000008BFC: 7E684134
	v_exp_f32_e32 v53, v53                                     // 000000008C00: 7E6A4135
	buffer_load_dwordx4 a[44:47], v45, s[12:15], 0 offen       // 000000008C04: E05C1000 80832C2D
	s_add_u32 s12, s78, s12                                    // 000000008C0C: 800C0C4E
	s_addc_u32 s13, 0, s13                                     // 000000008C10: 820D0D80
	v_add_f32_e64 v50, v50, 1.0                                // 000000008C14: D1010032 0001E532
	v_add_f32_e64 v51, v51, 1.0                                // 000000008C1C: D1010033 0001E533
	v_add_f32_e64 v52, v52, 1.0                                // 000000008C24: D1010034 0001E534
	v_add_f32_e64 v53, v53, 1.0                                // 000000008C2C: D1010035 0001E535
	v_rcp_f32_e32 v50, v50                                     // 000000008C34: 7E644532
	v_rcp_f32_e32 v51, v51                                     // 000000008C38: 7E664533
	v_rcp_f32_e32 v52, v52                                     // 000000008C3C: 7E684534
	v_rcp_f32_e32 v53, v53                                     // 000000008C40: 7E6A4535
	v_mul_f32_e32 v148, v148, v50                              // 000000008C44: 0B286594
	v_mul_f32_e32 v149, v149, v51                              // 000000008C48: 0B2A6795
	v_mul_f32_e32 v150, v150, v52                              // 000000008C4C: 0B2C6996
	v_mul_f32_e32 v151, v151, v53                              // 000000008C50: 0B2E6B97
	s_waitcnt vmcnt(28)                                        // 000000008C54: BF8C4F7C
	buffer_load_dwordx4 a[48:51], v42, s[12:15], 0 offen       // 000000008C58: E05C1000 8083302A
	v_mul_f32_e32 v50, v152, v152                              // 000000008C60: 0A653198
	v_mul_f32_e32 v51, v153, v153                              // 000000008C64: 0A673399
	v_mul_f32_e32 v52, v154, v154                              // 000000008C68: 0A69359A
	v_mul_f32_e32 v53, v155, v155                              // 000000008C6C: 0A6B379B
	v_fma_f32 v50, v50, s77, v1                                // 000000008C70: D1CB0032 04049B32
	v_fma_f32 v51, v51, s77, v1                                // 000000008C78: D1CB0033 04049B33
	v_fma_f32 v52, v52, s77, v1                                // 000000008C80: D1CB0034 04049B34
	v_fma_f32 v53, v53, s77, v1                                // 000000008C88: D1CB0035 04049B35
	v_mul_f32_e32 v50, v50, v152                               // 000000008C90: 0A653132
	v_mul_f32_e32 v51, v51, v153                               // 000000008C94: 0A673333
	v_mul_f32_e32 v52, v52, v154                               // 000000008C98: 0A693534
	v_mul_f32_e32 v53, v53, v155                               // 000000008C9C: 0A6B3735
	v_mul_f32_e64 v50, v50, s6                                 // 000000008CA0: D1050032 00000D32
	v_mul_f32_e64 v51, v51, s6                                 // 000000008CA8: D1050033 00000D33
	v_mul_f32_e64 v52, v52, s6                                 // 000000008CB0: D1050034 00000D34
	v_mul_f32_e64 v53, v53, s6                                 // 000000008CB8: D1050035 00000D35
	v_exp_f32_e32 v50, v50                                     // 000000008CC0: 7E644132
	v_exp_f32_e32 v51, v51                                     // 000000008CC4: 7E664133
	v_exp_f32_e32 v52, v52                                     // 000000008CC8: 7E684134
	v_exp_f32_e32 v53, v53                                     // 000000008CCC: 7E6A4135
	buffer_load_dwordx4 a[52:55], v43, s[12:15], 0 offen       // 000000008CD0: E05C1000 8083342B
	v_add_f32_e64 v50, v50, 1.0                                // 000000008CD8: D1010032 0001E532
	v_add_f32_e64 v51, v51, 1.0                                // 000000008CE0: D1010033 0001E533
	v_add_f32_e64 v52, v52, 1.0                                // 000000008CE8: D1010034 0001E534
	v_add_f32_e64 v53, v53, 1.0                                // 000000008CF0: D1010035 0001E535
	v_rcp_f32_e32 v50, v50                                     // 000000008CF8: 7E644532
	v_rcp_f32_e32 v51, v51                                     // 000000008CFC: 7E664533
	v_rcp_f32_e32 v52, v52                                     // 000000008D00: 7E684534
	v_rcp_f32_e32 v53, v53                                     // 000000008D04: 7E6A4535
	v_mul_f32_e32 v152, v152, v50                              // 000000008D08: 0B306598
	v_mul_f32_e32 v153, v153, v51                              // 000000008D0C: 0B326799
	v_mul_f32_e32 v154, v154, v52                              // 000000008D10: 0B34699A
	v_mul_f32_e32 v155, v155, v53                              // 000000008D14: 0B366B9B
	buffer_load_dwordx4 a[56:59], v44, s[12:15], 0 offen       // 000000008D18: E05C1000 8083382C
	v_mul_f32_e32 v50, v156, v156                              // 000000008D20: 0A65399C
	v_mul_f32_e32 v51, v157, v157                              // 000000008D24: 0A673B9D
	v_mul_f32_e32 v52, v158, v158                              // 000000008D28: 0A693D9E
	v_mul_f32_e32 v53, v159, v159                              // 000000008D2C: 0A6B3F9F
	v_fma_f32 v50, v50, s77, v1                                // 000000008D30: D1CB0032 04049B32
	v_fma_f32 v51, v51, s77, v1                                // 000000008D38: D1CB0033 04049B33
	v_fma_f32 v52, v52, s77, v1                                // 000000008D40: D1CB0034 04049B34
	v_fma_f32 v53, v53, s77, v1                                // 000000008D48: D1CB0035 04049B35
	v_mul_f32_e32 v50, v50, v156                               // 000000008D50: 0A653932
	v_mul_f32_e32 v51, v51, v157                               // 000000008D54: 0A673B33
	v_mul_f32_e32 v52, v52, v158                               // 000000008D58: 0A693D34
	v_mul_f32_e32 v53, v53, v159                               // 000000008D5C: 0A6B3F35
	v_mul_f32_e64 v50, v50, s6                                 // 000000008D60: D1050032 00000D32
	v_mul_f32_e64 v51, v51, s6                                 // 000000008D68: D1050033 00000D33
	v_mul_f32_e64 v52, v52, s6                                 // 000000008D70: D1050034 00000D34
	v_mul_f32_e64 v53, v53, s6                                 // 000000008D78: D1050035 00000D35
	v_exp_f32_e32 v50, v50                                     // 000000008D80: 7E644132
	v_exp_f32_e32 v51, v51                                     // 000000008D84: 7E664133
	v_exp_f32_e32 v52, v52                                     // 000000008D88: 7E684134
	v_exp_f32_e32 v53, v53                                     // 000000008D8C: 7E6A4135
	buffer_load_dwordx4 a[60:63], v45, s[12:15], 0 offen       // 000000008D90: E05C1000 80833C2D
	s_add_u32 s12, s78, s12                                    // 000000008D98: 800C0C4E
	s_addc_u32 s13, 0, s13                                     // 000000008D9C: 820D0D80
	v_add_f32_e64 v50, v50, 1.0                                // 000000008DA0: D1010032 0001E532
	v_add_f32_e64 v51, v51, 1.0                                // 000000008DA8: D1010033 0001E533
	v_add_f32_e64 v52, v52, 1.0                                // 000000008DB0: D1010034 0001E534
	v_add_f32_e64 v53, v53, 1.0                                // 000000008DB8: D1010035 0001E535
	v_rcp_f32_e32 v50, v50                                     // 000000008DC0: 7E644532
	v_rcp_f32_e32 v51, v51                                     // 000000008DC4: 7E664533
	v_rcp_f32_e32 v52, v52                                     // 000000008DC8: 7E684534
	v_rcp_f32_e32 v53, v53                                     // 000000008DCC: 7E6A4535
	v_mul_f32_e32 v156, v156, v50                              // 000000008DD0: 0B38659C
	v_mul_f32_e32 v157, v157, v51                              // 000000008DD4: 0B3A679D
	v_mul_f32_e32 v158, v158, v52                              // 000000008DD8: 0B3C699E
	v_mul_f32_e32 v159, v159, v53                              // 000000008DDC: 0B3E6B9F
	s_waitcnt vmcnt(28)                                        // 000000008DE0: BF8C4F7C
	buffer_load_dwordx4 a[64:67], v42, s[12:15], 0 offen       // 000000008DE4: E05C1000 8083402A
	v_mul_f32_e32 v50, v160, v160                              // 000000008DEC: 0A6541A0
	v_mul_f32_e32 v51, v161, v161                              // 000000008DF0: 0A6743A1
	v_mul_f32_e32 v52, v162, v162                              // 000000008DF4: 0A6945A2
	v_mul_f32_e32 v53, v163, v163                              // 000000008DF8: 0A6B47A3
	v_fma_f32 v50, v50, s77, v1                                // 000000008DFC: D1CB0032 04049B32
	v_fma_f32 v51, v51, s77, v1                                // 000000008E04: D1CB0033 04049B33
	v_fma_f32 v52, v52, s77, v1                                // 000000008E0C: D1CB0034 04049B34
	v_fma_f32 v53, v53, s77, v1                                // 000000008E14: D1CB0035 04049B35
	v_mul_f32_e32 v50, v50, v160                               // 000000008E1C: 0A654132
	v_mul_f32_e32 v51, v51, v161                               // 000000008E20: 0A674333
	v_mul_f32_e32 v52, v52, v162                               // 000000008E24: 0A694534
	v_mul_f32_e32 v53, v53, v163                               // 000000008E28: 0A6B4735
	v_mul_f32_e64 v50, v50, s6                                 // 000000008E2C: D1050032 00000D32
	v_mul_f32_e64 v51, v51, s6                                 // 000000008E34: D1050033 00000D33
	v_mul_f32_e64 v52, v52, s6                                 // 000000008E3C: D1050034 00000D34
	v_mul_f32_e64 v53, v53, s6                                 // 000000008E44: D1050035 00000D35
	v_exp_f32_e32 v50, v50                                     // 000000008E4C: 7E644132
	v_exp_f32_e32 v51, v51                                     // 000000008E50: 7E664133
	v_exp_f32_e32 v52, v52                                     // 000000008E54: 7E684134
	v_exp_f32_e32 v53, v53                                     // 000000008E58: 7E6A4135
	buffer_load_dwordx4 a[68:71], v43, s[12:15], 0 offen       // 000000008E5C: E05C1000 8083442B
	v_add_f32_e64 v50, v50, 1.0                                // 000000008E64: D1010032 0001E532
	v_add_f32_e64 v51, v51, 1.0                                // 000000008E6C: D1010033 0001E533
	v_add_f32_e64 v52, v52, 1.0                                // 000000008E74: D1010034 0001E534
	v_add_f32_e64 v53, v53, 1.0                                // 000000008E7C: D1010035 0001E535
	v_rcp_f32_e32 v50, v50                                     // 000000008E84: 7E644532
	v_rcp_f32_e32 v51, v51                                     // 000000008E88: 7E664533
	v_rcp_f32_e32 v52, v52                                     // 000000008E8C: 7E684534
	v_rcp_f32_e32 v53, v53                                     // 000000008E90: 7E6A4535
	v_mul_f32_e32 v160, v160, v50                              // 000000008E94: 0B4065A0
	v_mul_f32_e32 v161, v161, v51                              // 000000008E98: 0B4267A1
	v_mul_f32_e32 v162, v162, v52                              // 000000008E9C: 0B4469A2
	v_mul_f32_e32 v163, v163, v53                              // 000000008EA0: 0B466BA3
	buffer_load_dwordx4 a[72:75], v44, s[12:15], 0 offen       // 000000008EA4: E05C1000 8083482C
	v_mul_f32_e32 v50, v164, v164                              // 000000008EAC: 0A6549A4
	v_mul_f32_e32 v51, v165, v165                              // 000000008EB0: 0A674BA5
	v_mul_f32_e32 v52, v166, v166                              // 000000008EB4: 0A694DA6
	v_mul_f32_e32 v53, v167, v167                              // 000000008EB8: 0A6B4FA7
	v_fma_f32 v50, v50, s77, v1                                // 000000008EBC: D1CB0032 04049B32
	v_fma_f32 v51, v51, s77, v1                                // 000000008EC4: D1CB0033 04049B33
	v_fma_f32 v52, v52, s77, v1                                // 000000008ECC: D1CB0034 04049B34
	v_fma_f32 v53, v53, s77, v1                                // 000000008ED4: D1CB0035 04049B35
	v_mul_f32_e32 v50, v50, v164                               // 000000008EDC: 0A654932
	v_mul_f32_e32 v51, v51, v165                               // 000000008EE0: 0A674B33
	v_mul_f32_e32 v52, v52, v166                               // 000000008EE4: 0A694D34
	v_mul_f32_e32 v53, v53, v167                               // 000000008EE8: 0A6B4F35
	v_mul_f32_e64 v50, v50, s6                                 // 000000008EEC: D1050032 00000D32
	v_mul_f32_e64 v51, v51, s6                                 // 000000008EF4: D1050033 00000D33
	v_mul_f32_e64 v52, v52, s6                                 // 000000008EFC: D1050034 00000D34
	v_mul_f32_e64 v53, v53, s6                                 // 000000008F04: D1050035 00000D35
	v_exp_f32_e32 v50, v50                                     // 000000008F0C: 7E644132
	v_exp_f32_e32 v51, v51                                     // 000000008F10: 7E664133
	v_exp_f32_e32 v52, v52                                     // 000000008F14: 7E684134
	v_exp_f32_e32 v53, v53                                     // 000000008F18: 7E6A4135
	buffer_load_dwordx4 a[76:79], v45, s[12:15], 0 offen       // 000000008F1C: E05C1000 80834C2D
	s_add_u32 s12, s78, s12                                    // 000000008F24: 800C0C4E
	s_addc_u32 s13, 0, s13                                     // 000000008F28: 820D0D80
	v_add_f32_e64 v50, v50, 1.0                                // 000000008F2C: D1010032 0001E532
	v_add_f32_e64 v51, v51, 1.0                                // 000000008F34: D1010033 0001E533
	v_add_f32_e64 v52, v52, 1.0                                // 000000008F3C: D1010034 0001E534
	v_add_f32_e64 v53, v53, 1.0                                // 000000008F44: D1010035 0001E535
	v_rcp_f32_e32 v50, v50                                     // 000000008F4C: 7E644532
	v_rcp_f32_e32 v51, v51                                     // 000000008F50: 7E664533
	v_rcp_f32_e32 v52, v52                                     // 000000008F54: 7E684534
	v_rcp_f32_e32 v53, v53                                     // 000000008F58: 7E6A4535
	v_mul_f32_e32 v164, v164, v50                              // 000000008F5C: 0B4865A4
	v_mul_f32_e32 v165, v165, v51                              // 000000008F60: 0B4A67A5
	v_mul_f32_e32 v166, v166, v52                              // 000000008F64: 0B4C69A6
	v_mul_f32_e32 v167, v167, v53                              // 000000008F68: 0B4E6BA7
	s_waitcnt vmcnt(28)                                        // 000000008F6C: BF8C4F7C
	buffer_load_dwordx4 a[80:83], v42, s[12:15], 0 offen       // 000000008F70: E05C1000 8083502A
	v_mul_f32_e32 v50, v168, v168                              // 000000008F78: 0A6551A8
	v_mul_f32_e32 v51, v169, v169                              // 000000008F7C: 0A6753A9
	v_mul_f32_e32 v52, v170, v170                              // 000000008F80: 0A6955AA
	v_mul_f32_e32 v53, v171, v171                              // 000000008F84: 0A6B57AB
	v_fma_f32 v50, v50, s77, v1                                // 000000008F88: D1CB0032 04049B32
	v_fma_f32 v51, v51, s77, v1                                // 000000008F90: D1CB0033 04049B33
	v_fma_f32 v52, v52, s77, v1                                // 000000008F98: D1CB0034 04049B34
	v_fma_f32 v53, v53, s77, v1                                // 000000008FA0: D1CB0035 04049B35
	v_mul_f32_e32 v50, v50, v168                               // 000000008FA8: 0A655132
	v_mul_f32_e32 v51, v51, v169                               // 000000008FAC: 0A675333
	v_mul_f32_e32 v52, v52, v170                               // 000000008FB0: 0A695534
	v_mul_f32_e32 v53, v53, v171                               // 000000008FB4: 0A6B5735
	v_mul_f32_e64 v50, v50, s6                                 // 000000008FB8: D1050032 00000D32
	v_mul_f32_e64 v51, v51, s6                                 // 000000008FC0: D1050033 00000D33
	v_mul_f32_e64 v52, v52, s6                                 // 000000008FC8: D1050034 00000D34
	v_mul_f32_e64 v53, v53, s6                                 // 000000008FD0: D1050035 00000D35
	v_exp_f32_e32 v50, v50                                     // 000000008FD8: 7E644132
	v_exp_f32_e32 v51, v51                                     // 000000008FDC: 7E664133
	v_exp_f32_e32 v52, v52                                     // 000000008FE0: 7E684134
	v_exp_f32_e32 v53, v53                                     // 000000008FE4: 7E6A4135
	buffer_load_dwordx4 a[84:87], v43, s[12:15], 0 offen       // 000000008FE8: E05C1000 8083542B
	v_add_f32_e64 v50, v50, 1.0                                // 000000008FF0: D1010032 0001E532
	v_add_f32_e64 v51, v51, 1.0                                // 000000008FF8: D1010033 0001E533
	v_add_f32_e64 v52, v52, 1.0                                // 000000009000: D1010034 0001E534
	v_add_f32_e64 v53, v53, 1.0                                // 000000009008: D1010035 0001E535
	v_rcp_f32_e32 v50, v50                                     // 000000009010: 7E644532
	v_rcp_f32_e32 v51, v51                                     // 000000009014: 7E664533
	v_rcp_f32_e32 v52, v52                                     // 000000009018: 7E684534
	v_rcp_f32_e32 v53, v53                                     // 00000000901C: 7E6A4535
	v_mul_f32_e32 v168, v168, v50                              // 000000009020: 0B5065A8
	v_mul_f32_e32 v169, v169, v51                              // 000000009024: 0B5267A9
	v_mul_f32_e32 v170, v170, v52                              // 000000009028: 0B5469AA
	v_mul_f32_e32 v171, v171, v53                              // 00000000902C: 0B566BAB
	buffer_load_dwordx4 a[88:91], v44, s[12:15], 0 offen       // 000000009030: E05C1000 8083582C
	v_mul_f32_e32 v50, v172, v172                              // 000000009038: 0A6559AC
	v_mul_f32_e32 v51, v173, v173                              // 00000000903C: 0A675BAD
	v_mul_f32_e32 v52, v174, v174                              // 000000009040: 0A695DAE
	v_mul_f32_e32 v53, v175, v175                              // 000000009044: 0A6B5FAF
	v_fma_f32 v50, v50, s77, v1                                // 000000009048: D1CB0032 04049B32
	v_fma_f32 v51, v51, s77, v1                                // 000000009050: D1CB0033 04049B33
	v_fma_f32 v52, v52, s77, v1                                // 000000009058: D1CB0034 04049B34
	v_fma_f32 v53, v53, s77, v1                                // 000000009060: D1CB0035 04049B35
	v_mul_f32_e32 v50, v50, v172                               // 000000009068: 0A655932
	v_mul_f32_e32 v51, v51, v173                               // 00000000906C: 0A675B33
	v_mul_f32_e32 v52, v52, v174                               // 000000009070: 0A695D34
	v_mul_f32_e32 v53, v53, v175                               // 000000009074: 0A6B5F35
	v_mul_f32_e64 v50, v50, s6                                 // 000000009078: D1050032 00000D32
	v_mul_f32_e64 v51, v51, s6                                 // 000000009080: D1050033 00000D33
	v_mul_f32_e64 v52, v52, s6                                 // 000000009088: D1050034 00000D34
	v_mul_f32_e64 v53, v53, s6                                 // 000000009090: D1050035 00000D35
	v_exp_f32_e32 v50, v50                                     // 000000009098: 7E644132
	v_exp_f32_e32 v51, v51                                     // 00000000909C: 7E664133
	v_exp_f32_e32 v52, v52                                     // 0000000090A0: 7E684134
	v_exp_f32_e32 v53, v53                                     // 0000000090A4: 7E6A4135
	buffer_load_dwordx4 a[92:95], v45, s[12:15], 0 offen       // 0000000090A8: E05C1000 80835C2D
	s_add_u32 s12, s78, s12                                    // 0000000090B0: 800C0C4E
	s_addc_u32 s13, 0, s13                                     // 0000000090B4: 820D0D80
	v_add_f32_e64 v50, v50, 1.0                                // 0000000090B8: D1010032 0001E532
	v_add_f32_e64 v51, v51, 1.0                                // 0000000090C0: D1010033 0001E533
	v_add_f32_e64 v52, v52, 1.0                                // 0000000090C8: D1010034 0001E534
	v_add_f32_e64 v53, v53, 1.0                                // 0000000090D0: D1010035 0001E535
	v_rcp_f32_e32 v50, v50                                     // 0000000090D8: 7E644532
	v_rcp_f32_e32 v51, v51                                     // 0000000090DC: 7E664533
	v_rcp_f32_e32 v52, v52                                     // 0000000090E0: 7E684534
	v_rcp_f32_e32 v53, v53                                     // 0000000090E4: 7E6A4535
	v_mul_f32_e32 v172, v172, v50                              // 0000000090E8: 0B5865AC
	v_mul_f32_e32 v173, v173, v51                              // 0000000090EC: 0B5A67AD
	v_mul_f32_e32 v174, v174, v52                              // 0000000090F0: 0B5C69AE
	v_mul_f32_e32 v175, v175, v53                              // 0000000090F4: 0B5E6BAF
	s_waitcnt vmcnt(28)                                        // 0000000090F8: BF8C4F7C
	buffer_load_dwordx4 a[96:99], v42, s[12:15], 0 offen       // 0000000090FC: E05C1000 8083602A
	v_mul_f32_e32 v50, v176, v176                              // 000000009104: 0A6561B0
	v_mul_f32_e32 v51, v177, v177                              // 000000009108: 0A6763B1
	v_mul_f32_e32 v52, v178, v178                              // 00000000910C: 0A6965B2
	v_mul_f32_e32 v53, v179, v179                              // 000000009110: 0A6B67B3
	v_fma_f32 v50, v50, s77, v1                                // 000000009114: D1CB0032 04049B32
	v_fma_f32 v51, v51, s77, v1                                // 00000000911C: D1CB0033 04049B33
	v_fma_f32 v52, v52, s77, v1                                // 000000009124: D1CB0034 04049B34
	v_fma_f32 v53, v53, s77, v1                                // 00000000912C: D1CB0035 04049B35
	v_mul_f32_e32 v50, v50, v176                               // 000000009134: 0A656132
	v_mul_f32_e32 v51, v51, v177                               // 000000009138: 0A676333
	v_mul_f32_e32 v52, v52, v178                               // 00000000913C: 0A696534
	v_mul_f32_e32 v53, v53, v179                               // 000000009140: 0A6B6735
	v_mul_f32_e64 v50, v50, s6                                 // 000000009144: D1050032 00000D32
	v_mul_f32_e64 v51, v51, s6                                 // 00000000914C: D1050033 00000D33
	v_mul_f32_e64 v52, v52, s6                                 // 000000009154: D1050034 00000D34
	v_mul_f32_e64 v53, v53, s6                                 // 00000000915C: D1050035 00000D35
	v_exp_f32_e32 v50, v50                                     // 000000009164: 7E644132
	v_exp_f32_e32 v51, v51                                     // 000000009168: 7E664133
	v_exp_f32_e32 v52, v52                                     // 00000000916C: 7E684134
	v_exp_f32_e32 v53, v53                                     // 000000009170: 7E6A4135
	buffer_load_dwordx4 a[100:103], v43, s[12:15], 0 offen     // 000000009174: E05C1000 8083642B
	v_add_f32_e64 v50, v50, 1.0                                // 00000000917C: D1010032 0001E532
	v_add_f32_e64 v51, v51, 1.0                                // 000000009184: D1010033 0001E533
	v_add_f32_e64 v52, v52, 1.0                                // 00000000918C: D1010034 0001E534
	v_add_f32_e64 v53, v53, 1.0                                // 000000009194: D1010035 0001E535
	v_rcp_f32_e32 v50, v50                                     // 00000000919C: 7E644532
	v_rcp_f32_e32 v51, v51                                     // 0000000091A0: 7E664533
	v_rcp_f32_e32 v52, v52                                     // 0000000091A4: 7E684534
	v_rcp_f32_e32 v53, v53                                     // 0000000091A8: 7E6A4535
	v_mul_f32_e32 v176, v176, v50                              // 0000000091AC: 0B6065B0
	v_mul_f32_e32 v177, v177, v51                              // 0000000091B0: 0B6267B1
	v_mul_f32_e32 v178, v178, v52                              // 0000000091B4: 0B6469B2
	v_mul_f32_e32 v179, v179, v53                              // 0000000091B8: 0B666BB3
	buffer_load_dwordx4 a[104:107], v44, s[12:15], 0 offen     // 0000000091BC: E05C1000 8083682C
	v_mul_f32_e32 v50, v180, v180                              // 0000000091C4: 0A6569B4
	v_mul_f32_e32 v51, v181, v181                              // 0000000091C8: 0A676BB5
	v_mul_f32_e32 v52, v182, v182                              // 0000000091CC: 0A696DB6
	v_mul_f32_e32 v53, v183, v183                              // 0000000091D0: 0A6B6FB7
	v_fma_f32 v50, v50, s77, v1                                // 0000000091D4: D1CB0032 04049B32
	v_fma_f32 v51, v51, s77, v1                                // 0000000091DC: D1CB0033 04049B33
	v_fma_f32 v52, v52, s77, v1                                // 0000000091E4: D1CB0034 04049B34
	v_fma_f32 v53, v53, s77, v1                                // 0000000091EC: D1CB0035 04049B35
	v_mul_f32_e32 v50, v50, v180                               // 0000000091F4: 0A656932
	v_mul_f32_e32 v51, v51, v181                               // 0000000091F8: 0A676B33
	v_mul_f32_e32 v52, v52, v182                               // 0000000091FC: 0A696D34
	v_mul_f32_e32 v53, v53, v183                               // 000000009200: 0A6B6F35
	v_mul_f32_e64 v50, v50, s6                                 // 000000009204: D1050032 00000D32
	v_mul_f32_e64 v51, v51, s6                                 // 00000000920C: D1050033 00000D33
	v_mul_f32_e64 v52, v52, s6                                 // 000000009214: D1050034 00000D34
	v_mul_f32_e64 v53, v53, s6                                 // 00000000921C: D1050035 00000D35
	v_exp_f32_e32 v50, v50                                     // 000000009224: 7E644132
	v_exp_f32_e32 v51, v51                                     // 000000009228: 7E664133
	v_exp_f32_e32 v52, v52                                     // 00000000922C: 7E684134
	v_exp_f32_e32 v53, v53                                     // 000000009230: 7E6A4135
	buffer_load_dwordx4 a[108:111], v45, s[12:15], 0 offen     // 000000009234: E05C1000 80836C2D
	s_add_u32 s12, s78, s12                                    // 00000000923C: 800C0C4E
	s_addc_u32 s13, 0, s13                                     // 000000009240: 820D0D80
	v_add_f32_e64 v50, v50, 1.0                                // 000000009244: D1010032 0001E532
	v_add_f32_e64 v51, v51, 1.0                                // 00000000924C: D1010033 0001E533
	v_add_f32_e64 v52, v52, 1.0                                // 000000009254: D1010034 0001E534
	v_add_f32_e64 v53, v53, 1.0                                // 00000000925C: D1010035 0001E535
	v_rcp_f32_e32 v50, v50                                     // 000000009264: 7E644532
	v_rcp_f32_e32 v51, v51                                     // 000000009268: 7E664533
	v_rcp_f32_e32 v52, v52                                     // 00000000926C: 7E684534
	v_rcp_f32_e32 v53, v53                                     // 000000009270: 7E6A4535
	v_mul_f32_e32 v180, v180, v50                              // 000000009274: 0B6865B4
	v_mul_f32_e32 v181, v181, v51                              // 000000009278: 0B6A67B5
	v_mul_f32_e32 v182, v182, v52                              // 00000000927C: 0B6C69B6
	v_mul_f32_e32 v183, v183, v53                              // 000000009280: 0B6E6BB7
	s_waitcnt vmcnt(28)                                        // 000000009284: BF8C4F7C
	buffer_load_dwordx4 a[112:115], v42, s[12:15], 0 offen     // 000000009288: E05C1000 8083702A
	v_mul_f32_e32 v50, v184, v184                              // 000000009290: 0A6571B8
	v_mul_f32_e32 v51, v185, v185                              // 000000009294: 0A6773B9
	v_mul_f32_e32 v52, v186, v186                              // 000000009298: 0A6975BA
	v_mul_f32_e32 v53, v187, v187                              // 00000000929C: 0A6B77BB
	v_fma_f32 v50, v50, s77, v1                                // 0000000092A0: D1CB0032 04049B32
	v_fma_f32 v51, v51, s77, v1                                // 0000000092A8: D1CB0033 04049B33
	v_fma_f32 v52, v52, s77, v1                                // 0000000092B0: D1CB0034 04049B34
	v_fma_f32 v53, v53, s77, v1                                // 0000000092B8: D1CB0035 04049B35
	v_mul_f32_e32 v50, v50, v184                               // 0000000092C0: 0A657132
	v_mul_f32_e32 v51, v51, v185                               // 0000000092C4: 0A677333
	v_mul_f32_e32 v52, v52, v186                               // 0000000092C8: 0A697534
	v_mul_f32_e32 v53, v53, v187                               // 0000000092CC: 0A6B7735
	v_mul_f32_e64 v50, v50, s6                                 // 0000000092D0: D1050032 00000D32
	v_mul_f32_e64 v51, v51, s6                                 // 0000000092D8: D1050033 00000D33
	v_mul_f32_e64 v52, v52, s6                                 // 0000000092E0: D1050034 00000D34
	v_mul_f32_e64 v53, v53, s6                                 // 0000000092E8: D1050035 00000D35
	v_exp_f32_e32 v50, v50                                     // 0000000092F0: 7E644132
	v_exp_f32_e32 v51, v51                                     // 0000000092F4: 7E664133
	v_exp_f32_e32 v52, v52                                     // 0000000092F8: 7E684134
	v_exp_f32_e32 v53, v53                                     // 0000000092FC: 7E6A4135
	buffer_load_dwordx4 a[116:119], v43, s[12:15], 0 offen     // 000000009300: E05C1000 8083742B
	v_add_f32_e64 v50, v50, 1.0                                // 000000009308: D1010032 0001E532
	v_add_f32_e64 v51, v51, 1.0                                // 000000009310: D1010033 0001E533
	v_add_f32_e64 v52, v52, 1.0                                // 000000009318: D1010034 0001E534
	v_add_f32_e64 v53, v53, 1.0                                // 000000009320: D1010035 0001E535
	v_rcp_f32_e32 v50, v50                                     // 000000009328: 7E644532
	v_rcp_f32_e32 v51, v51                                     // 00000000932C: 7E664533
	v_rcp_f32_e32 v52, v52                                     // 000000009330: 7E684534
	v_rcp_f32_e32 v53, v53                                     // 000000009334: 7E6A4535
	v_mul_f32_e32 v184, v184, v50                              // 000000009338: 0B7065B8
	v_mul_f32_e32 v185, v185, v51                              // 00000000933C: 0B7267B9
	v_mul_f32_e32 v186, v186, v52                              // 000000009340: 0B7469BA
	v_mul_f32_e32 v187, v187, v53                              // 000000009344: 0B766BBB
	buffer_load_dwordx4 a[120:123], v44, s[12:15], 0 offen     // 000000009348: E05C1000 8083782C
	v_mul_f32_e32 v50, v188, v188                              // 000000009350: 0A6579BC
	v_mul_f32_e32 v51, v189, v189                              // 000000009354: 0A677BBD
	v_mul_f32_e32 v52, v190, v190                              // 000000009358: 0A697DBE
	v_mul_f32_e32 v53, v191, v191                              // 00000000935C: 0A6B7FBF
	v_fma_f32 v50, v50, s77, v1                                // 000000009360: D1CB0032 04049B32
	v_fma_f32 v51, v51, s77, v1                                // 000000009368: D1CB0033 04049B33
	v_fma_f32 v52, v52, s77, v1                                // 000000009370: D1CB0034 04049B34
	v_fma_f32 v53, v53, s77, v1                                // 000000009378: D1CB0035 04049B35
	v_mul_f32_e32 v50, v50, v188                               // 000000009380: 0A657932
	v_mul_f32_e32 v51, v51, v189                               // 000000009384: 0A677B33
	v_mul_f32_e32 v52, v52, v190                               // 000000009388: 0A697D34
	v_mul_f32_e32 v53, v53, v191                               // 00000000938C: 0A6B7F35
	v_mul_f32_e64 v50, v50, s6                                 // 000000009390: D1050032 00000D32
	v_mul_f32_e64 v51, v51, s6                                 // 000000009398: D1050033 00000D33
	v_mul_f32_e64 v52, v52, s6                                 // 0000000093A0: D1050034 00000D34
	v_mul_f32_e64 v53, v53, s6                                 // 0000000093A8: D1050035 00000D35
	v_exp_f32_e32 v50, v50                                     // 0000000093B0: 7E644132
	v_exp_f32_e32 v51, v51                                     // 0000000093B4: 7E664133
	v_exp_f32_e32 v52, v52                                     // 0000000093B8: 7E684134
	v_exp_f32_e32 v53, v53                                     // 0000000093BC: 7E6A4135
	buffer_load_dwordx4 a[124:127], v45, s[12:15], 0 offen     // 0000000093C0: E05C1000 80837C2D
	v_add_f32_e64 v50, v50, 1.0                                // 0000000093C8: D1010032 0001E532
	v_add_f32_e64 v51, v51, 1.0                                // 0000000093D0: D1010033 0001E533
	v_add_f32_e64 v52, v52, 1.0                                // 0000000093D8: D1010034 0001E534
	v_add_f32_e64 v53, v53, 1.0                                // 0000000093E0: D1010035 0001E535
	v_rcp_f32_e32 v50, v50                                     // 0000000093E8: 7E644532
	v_rcp_f32_e32 v51, v51                                     // 0000000093EC: 7E664533
	v_rcp_f32_e32 v52, v52                                     // 0000000093F0: 7E684534
	v_rcp_f32_e32 v53, v53                                     // 0000000093F4: 7E6A4535
	v_mul_f32_e32 v188, v188, v50                              // 0000000093F8: 0B7865BC
	v_mul_f32_e32 v189, v189, v51                              // 0000000093FC: 0B7A67BD
	v_mul_f32_e32 v190, v190, v52                              // 000000009400: 0B7C69BE
	v_mul_f32_e32 v191, v191, v53                              // 000000009404: 0B7E6BBF
	v_mul_f32_dpp v128, v18, v128 row_newbcast:0 row_mask:0xf bank_mask:0xf// 000000009408: 0B0100FA FF015012
	v_mul_f32_dpp v129, v18, v129 row_newbcast:1 row_mask:0xf bank_mask:0xf// 000000009410: 0B0302FA FF015112
	v_mul_f32_dpp v130, v18, v130 row_newbcast:2 row_mask:0xf bank_mask:0xf// 000000009418: 0B0504FA FF015212
	v_mul_f32_dpp v131, v18, v131 row_newbcast:3 row_mask:0xf bank_mask:0xf// 000000009420: 0B0706FA FF015312
	v_mul_f32_dpp v132, v18, v132 row_newbcast:0 row_mask:0xf bank_mask:0xf// 000000009428: 0B0908FA FF015012
	v_mul_f32_dpp v133, v18, v133 row_newbcast:1 row_mask:0xf bank_mask:0xf// 000000009430: 0B0B0AFA FF015112
	v_mul_f32_dpp v134, v18, v134 row_newbcast:2 row_mask:0xf bank_mask:0xf// 000000009438: 0B0D0CFA FF015212
	v_mul_f32_dpp v135, v18, v135 row_newbcast:3 row_mask:0xf bank_mask:0xf// 000000009440: 0B0F0EFA FF015312
	v_mul_f32_dpp v136, v18, v136 row_newbcast:4 row_mask:0xf bank_mask:0xf// 000000009448: 0B1110FA FF015412
	v_mul_f32_dpp v137, v18, v137 row_newbcast:5 row_mask:0xf bank_mask:0xf// 000000009450: 0B1312FA FF015512
	v_mul_f32_dpp v138, v18, v138 row_newbcast:6 row_mask:0xf bank_mask:0xf// 000000009458: 0B1514FA FF015612
	v_mul_f32_dpp v139, v18, v139 row_newbcast:7 row_mask:0xf bank_mask:0xf// 000000009460: 0B1716FA FF015712
	v_mul_f32_dpp v140, v18, v140 row_newbcast:4 row_mask:0xf bank_mask:0xf// 000000009468: 0B1918FA FF015412
	v_mul_f32_dpp v141, v18, v141 row_newbcast:5 row_mask:0xf bank_mask:0xf// 000000009470: 0B1B1AFA FF015512
	v_mul_f32_dpp v142, v18, v142 row_newbcast:6 row_mask:0xf bank_mask:0xf// 000000009478: 0B1D1CFA FF015612
	v_mul_f32_dpp v143, v18, v143 row_newbcast:7 row_mask:0xf bank_mask:0xf// 000000009480: 0B1F1EFA FF015712
	v_mul_f32_dpp v144, v18, v144 row_newbcast:8 row_mask:0xf bank_mask:0xf// 000000009488: 0B2120FA FF015812
	v_mul_f32_dpp v145, v18, v145 row_newbcast:9 row_mask:0xf bank_mask:0xf// 000000009490: 0B2322FA FF015912
	v_mul_f32_dpp v146, v18, v146 row_newbcast:10 row_mask:0xf bank_mask:0xf// 000000009498: 0B2524FA FF015A12
	v_mul_f32_dpp v147, v18, v147 row_newbcast:11 row_mask:0xf bank_mask:0xf// 0000000094A0: 0B2726FA FF015B12
	v_mul_f32_dpp v148, v18, v148 row_newbcast:8 row_mask:0xf bank_mask:0xf// 0000000094A8: 0B2928FA FF015812
	v_mul_f32_dpp v149, v18, v149 row_newbcast:9 row_mask:0xf bank_mask:0xf// 0000000094B0: 0B2B2AFA FF015912
	v_mul_f32_dpp v150, v18, v150 row_newbcast:10 row_mask:0xf bank_mask:0xf// 0000000094B8: 0B2D2CFA FF015A12
	v_mul_f32_dpp v151, v18, v151 row_newbcast:11 row_mask:0xf bank_mask:0xf// 0000000094C0: 0B2F2EFA FF015B12
	v_mul_f32_dpp v152, v18, v152 row_newbcast:12 row_mask:0xf bank_mask:0xf// 0000000094C8: 0B3130FA FF015C12
	v_mul_f32_dpp v153, v18, v153 row_newbcast:13 row_mask:0xf bank_mask:0xf// 0000000094D0: 0B3332FA FF015D12
	v_mul_f32_dpp v154, v18, v154 row_newbcast:14 row_mask:0xf bank_mask:0xf// 0000000094D8: 0B3534FA FF015E12
	v_mul_f32_dpp v155, v18, v155 row_newbcast:15 row_mask:0xf bank_mask:0xf// 0000000094E0: 0B3736FA FF015F12
	v_mul_f32_dpp v156, v18, v156 row_newbcast:12 row_mask:0xf bank_mask:0xf// 0000000094E8: 0B3938FA FF015C12
	v_mul_f32_dpp v157, v18, v157 row_newbcast:13 row_mask:0xf bank_mask:0xf// 0000000094F0: 0B3B3AFA FF015D12
	v_mul_f32_dpp v158, v18, v158 row_newbcast:14 row_mask:0xf bank_mask:0xf// 0000000094F8: 0B3D3CFA FF015E12
	v_mul_f32_dpp v159, v18, v159 row_newbcast:15 row_mask:0xf bank_mask:0xf// 000000009500: 0B3F3EFA FF015F12
	v_mul_f32_dpp v160, v19, v160 row_newbcast:0 row_mask:0xf bank_mask:0xf// 000000009508: 0B4140FA FF015013
	v_mul_f32_dpp v161, v19, v161 row_newbcast:1 row_mask:0xf bank_mask:0xf// 000000009510: 0B4342FA FF015113
	v_mul_f32_dpp v162, v19, v162 row_newbcast:2 row_mask:0xf bank_mask:0xf// 000000009518: 0B4544FA FF015213
	v_mul_f32_dpp v163, v19, v163 row_newbcast:3 row_mask:0xf bank_mask:0xf// 000000009520: 0B4746FA FF015313
	v_mul_f32_dpp v164, v19, v164 row_newbcast:0 row_mask:0xf bank_mask:0xf// 000000009528: 0B4948FA FF015013
	v_mul_f32_dpp v165, v19, v165 row_newbcast:1 row_mask:0xf bank_mask:0xf// 000000009530: 0B4B4AFA FF015113
	v_mul_f32_dpp v166, v19, v166 row_newbcast:2 row_mask:0xf bank_mask:0xf// 000000009538: 0B4D4CFA FF015213
	v_mul_f32_dpp v167, v19, v167 row_newbcast:3 row_mask:0xf bank_mask:0xf// 000000009540: 0B4F4EFA FF015313
	v_mul_f32_dpp v168, v19, v168 row_newbcast:4 row_mask:0xf bank_mask:0xf// 000000009548: 0B5150FA FF015413
	v_mul_f32_dpp v169, v19, v169 row_newbcast:5 row_mask:0xf bank_mask:0xf// 000000009550: 0B5352FA FF015513
	v_mul_f32_dpp v170, v19, v170 row_newbcast:6 row_mask:0xf bank_mask:0xf// 000000009558: 0B5554FA FF015613
	v_mul_f32_dpp v171, v19, v171 row_newbcast:7 row_mask:0xf bank_mask:0xf// 000000009560: 0B5756FA FF015713
	v_mul_f32_dpp v172, v19, v172 row_newbcast:4 row_mask:0xf bank_mask:0xf// 000000009568: 0B5958FA FF015413
	v_mul_f32_dpp v173, v19, v173 row_newbcast:5 row_mask:0xf bank_mask:0xf// 000000009570: 0B5B5AFA FF015513
	v_mul_f32_dpp v174, v19, v174 row_newbcast:6 row_mask:0xf bank_mask:0xf// 000000009578: 0B5D5CFA FF015613
	v_mul_f32_dpp v175, v19, v175 row_newbcast:7 row_mask:0xf bank_mask:0xf// 000000009580: 0B5F5EFA FF015713
	v_mul_f32_dpp v176, v19, v176 row_newbcast:8 row_mask:0xf bank_mask:0xf// 000000009588: 0B6160FA FF015813
	v_mul_f32_dpp v177, v19, v177 row_newbcast:9 row_mask:0xf bank_mask:0xf// 000000009590: 0B6362FA FF015913
	v_mul_f32_dpp v178, v19, v178 row_newbcast:10 row_mask:0xf bank_mask:0xf// 000000009598: 0B6564FA FF015A13
	v_mul_f32_dpp v179, v19, v179 row_newbcast:11 row_mask:0xf bank_mask:0xf// 0000000095A0: 0B6766FA FF015B13
	v_mul_f32_dpp v180, v19, v180 row_newbcast:8 row_mask:0xf bank_mask:0xf// 0000000095A8: 0B6968FA FF015813
	v_mul_f32_dpp v181, v19, v181 row_newbcast:9 row_mask:0xf bank_mask:0xf// 0000000095B0: 0B6B6AFA FF015913
	v_mul_f32_dpp v182, v19, v182 row_newbcast:10 row_mask:0xf bank_mask:0xf// 0000000095B8: 0B6D6CFA FF015A13
	v_mul_f32_dpp v183, v19, v183 row_newbcast:11 row_mask:0xf bank_mask:0xf// 0000000095C0: 0B6F6EFA FF015B13
	v_mul_f32_dpp v184, v19, v184 row_newbcast:12 row_mask:0xf bank_mask:0xf// 0000000095C8: 0B7170FA FF015C13
	v_mul_f32_dpp v185, v19, v185 row_newbcast:13 row_mask:0xf bank_mask:0xf// 0000000095D0: 0B7372FA FF015D13
	v_mul_f32_dpp v186, v19, v186 row_newbcast:14 row_mask:0xf bank_mask:0xf// 0000000095D8: 0B7574FA FF015E13
	v_mul_f32_dpp v187, v19, v187 row_newbcast:15 row_mask:0xf bank_mask:0xf// 0000000095E0: 0B7776FA FF015F13
	v_mul_f32_dpp v188, v19, v188 row_newbcast:12 row_mask:0xf bank_mask:0xf// 0000000095E8: 0B7978FA FF015C13
	v_mul_f32_dpp v189, v19, v189 row_newbcast:13 row_mask:0xf bank_mask:0xf// 0000000095F0: 0B7B7AFA FF015D13
	v_mul_f32_dpp v190, v19, v190 row_newbcast:14 row_mask:0xf bank_mask:0xf// 0000000095F8: 0B7D7CFA FF015E13
	v_mul_f32_dpp v191, v19, v191 row_newbcast:15 row_mask:0xf bank_mask:0xf// 000000009600: 0B7F7EFA FF015F13
	buffer_load_dword v12, v5, s[16:19], 0 offen               // 000000009608: E0501000 80040C05
	v_mov_b32_e32 v22, 0x358637bd                              // 000000009610: 7E2C02FF 358637BD
	v_mov_b32_e32 v23, 0x358637bd                              // 000000009618: 7E2E02FF 358637BD
	v_max3_f32 v22, |v128|, |v129|, v22                        // 000000009620: D1D30316 045B0380
	v_max3_f32 v22, |v130|, |v131|, v22                        // 000000009628: D1D30316 045B0782
	v_max3_f32 v23, |v132|, |v133|, v23                        // 000000009630: D1D30317 045F0B84
	v_max3_f32 v23, |v134|, |v135|, v23                        // 000000009638: D1D30317 045F0F86
	v_max3_f32 v22, |v136|, |v137|, v22                        // 000000009640: D1D30316 045B1388
	v_max3_f32 v22, |v138|, |v139|, v22                        // 000000009648: D1D30316 045B178A
	v_max3_f32 v23, |v140|, |v141|, v23                        // 000000009650: D1D30317 045F1B8C
	v_max3_f32 v23, |v142|, |v143|, v23                        // 000000009658: D1D30317 045F1F8E
	v_max3_f32 v22, |v144|, |v145|, v22                        // 000000009660: D1D30316 045B2390
	v_max3_f32 v22, |v146|, |v147|, v22                        // 000000009668: D1D30316 045B2792
	v_max3_f32 v23, |v148|, |v149|, v23                        // 000000009670: D1D30317 045F2B94
	v_max3_f32 v23, |v150|, |v151|, v23                        // 000000009678: D1D30317 045F2F96
	v_max3_f32 v22, |v152|, |v153|, v22                        // 000000009680: D1D30316 045B3398
	v_max3_f32 v22, |v154|, |v155|, v22                        // 000000009688: D1D30316 045B379A
	v_max3_f32 v23, |v156|, |v157|, v23                        // 000000009690: D1D30317 045F3B9C
	v_max3_f32 v23, |v158|, |v159|, v23                        // 000000009698: D1D30317 045F3F9E
	v_max3_f32 v22, |v160|, |v161|, v22                        // 0000000096A0: D1D30316 045B43A0
	v_max3_f32 v22, |v162|, |v163|, v22                        // 0000000096A8: D1D30316 045B47A2
	v_max3_f32 v23, |v164|, |v165|, v23                        // 0000000096B0: D1D30317 045F4BA4
	v_max3_f32 v23, |v166|, |v167|, v23                        // 0000000096B8: D1D30317 045F4FA6
	v_max3_f32 v22, |v168|, |v169|, v22                        // 0000000096C0: D1D30316 045B53A8
	v_max3_f32 v22, |v170|, |v171|, v22                        // 0000000096C8: D1D30316 045B57AA
	v_max3_f32 v23, |v172|, |v173|, v23                        // 0000000096D0: D1D30317 045F5BAC
	v_max3_f32 v23, |v174|, |v175|, v23                        // 0000000096D8: D1D30317 045F5FAE
	v_max3_f32 v22, |v176|, |v177|, v22                        // 0000000096E0: D1D30316 045B63B0
	v_max3_f32 v22, |v178|, |v179|, v22                        // 0000000096E8: D1D30316 045B67B2
	v_max3_f32 v23, |v180|, |v181|, v23                        // 0000000096F0: D1D30317 045F6BB4
	v_max3_f32 v23, |v182|, |v183|, v23                        // 0000000096F8: D1D30317 045F6FB6
	v_max3_f32 v22, |v184|, |v185|, v22                        // 000000009700: D1D30316 045B73B8
	v_max3_f32 v22, |v186|, |v187|, v22                        // 000000009708: D1D30316 045B77BA
	v_max3_f32 v23, |v188|, |v189|, v23                        // 000000009710: D1D30317 045F7BBC
	v_max3_f32 v23, |v190|, |v191|, v23                        // 000000009718: D1D30317 045F7FBE
	v_lshlrev_b32_e32 v50, 3, v0                               // 000000009720: 24640083
	s_mul_i32 s60, 0x200, s7                                   // 000000009724: 923C07FF 00000200
	v_add_u32_e32 v50, s60, v50                                // 00000000972C: 6864643C
	ds_write_b64 v50, v[22:23] offset:16640                    // 000000009730: D89A4100 00001632
	s_waitcnt lgkmcnt(0)                                       // 000000009738: BF8CC07F
	s_barrier                                                  // 00000000973C: BF8A0000
	v_and_b32_e32 v50, 15, v0                                  // 000000009740: 2664008F
	v_lshlrev_b32_e32 v50, 3, v50                              // 000000009744: 24646483
	ds_read_b64 v[96:97], v50 offset:16640                     // 000000009748: D8EC4100 60000032
	ds_read_b64 v[98:99], v50 offset:16768                     // 000000009750: D8EC4180 62000032
	ds_read_b64 v[100:101], v50 offset:16896                   // 000000009758: D8EC4200 64000032
	ds_read_b64 v[102:103], v50 offset:17024                   // 000000009760: D8EC4280 66000032
	ds_read_b64 v[104:105], v50 offset:17152                   // 000000009768: D8EC4300 68000032
	ds_read_b64 v[106:107], v50 offset:17280                   // 000000009770: D8EC4380 6A000032
	ds_read_b64 v[108:109], v50 offset:17408                   // 000000009778: D8EC4400 6C000032
	ds_read_b64 v[110:111], v50 offset:17536                   // 000000009780: D8EC4480 6E000032
	ds_read_b64 v[112:113], v50 offset:17664                   // 000000009788: D8EC4500 70000032
	ds_read_b64 v[114:115], v50 offset:17792                   // 000000009790: D8EC4580 72000032
	ds_read_b64 v[116:117], v50 offset:17920                   // 000000009798: D8EC4600 74000032
	ds_read_b64 v[118:119], v50 offset:18048                   // 0000000097A0: D8EC4680 76000032
	ds_read_b64 v[120:121], v50 offset:18176                   // 0000000097A8: D8EC4700 78000032
	ds_read_b64 v[122:123], v50 offset:18304                   // 0000000097B0: D8EC4780 7A000032
	ds_read_b64 v[124:125], v50 offset:18432                   // 0000000097B8: D8EC4800 7C000032
	ds_read_b64 v[126:127], v50 offset:18560                   // 0000000097C0: D8EC4880 7E000032
	s_waitcnt lgkmcnt(0)                                       // 0000000097C8: BF8CC07F
	v_max3_f32 v22, |v96|, |v98|, v22                          // 0000000097CC: D1D30316 045AC560
	v_max3_f32 v23, |v97|, |v99|, v23                          // 0000000097D4: D1D30317 045EC761
	v_max3_f32 v22, |v100|, |v102|, v22                        // 0000000097DC: D1D30316 045ACD64
	v_max3_f32 v23, |v101|, |v103|, v23                        // 0000000097E4: D1D30317 045ECF65
	v_max3_f32 v22, |v104|, |v106|, v22                        // 0000000097EC: D1D30316 045AD568
	v_max3_f32 v23, |v105|, |v107|, v23                        // 0000000097F4: D1D30317 045ED769
	v_max3_f32 v22, |v108|, |v110|, v22                        // 0000000097FC: D1D30316 045ADD6C
	v_max3_f32 v23, |v109|, |v111|, v23                        // 000000009804: D1D30317 045EDF6D
	v_max3_f32 v22, |v112|, |v114|, v22                        // 00000000980C: D1D30316 045AE570
	v_max3_f32 v23, |v113|, |v115|, v23                        // 000000009814: D1D30317 045EE771
	v_max3_f32 v22, |v116|, |v118|, v22                        // 00000000981C: D1D30316 045AED74
	v_max3_f32 v23, |v117|, |v119|, v23                        // 000000009824: D1D30317 045EEF75
	v_max3_f32 v22, |v120|, |v122|, v22                        // 00000000982C: D1D30316 045AF578
	v_max3_f32 v23, |v121|, |v123|, v23                        // 000000009834: D1D30317 045EF779
	v_max3_f32 v22, |v124|, |v126|, v22                        // 00000000983C: D1D30316 045AFD7C
	v_max3_f32 v23, |v125|, |v127|, v23                        // 000000009844: D1D30317 045EFF7D
	v_rcp_f32_e32 v22, v22                                     // 00000000984C: 7E2C4516
	v_rcp_f32_e32 v23, v23                                     // 000000009850: 7E2E4517
	v_mul_f32_e32 v22, 0x42fe0000, v22                         // 000000009854: 0A2C2CFF 42FE0000
	v_mul_f32_e32 v23, 0x42fe0000, v23                         // 00000000985C: 0A2E2EFF 42FE0000
	v_mul_f32_e32 v128, v22, v128                              // 000000009864: 0B010116
	v_mul_f32_e32 v129, v22, v129                              // 000000009868: 0B030316
	v_mul_f32_e32 v130, v22, v130                              // 00000000986C: 0B050516
	v_mul_f32_e32 v131, v22, v131                              // 000000009870: 0B070716
	v_cvt_i32_f32_e32 v128, v128                               // 000000009874: 7F001180
	v_cvt_i32_f32_e32 v129, v129                               // 000000009878: 7F021181
	v_cvt_i32_f32_e32 v130, v130                               // 00000000987C: 7F041182
	v_cvt_i32_f32_e32 v131, v131                               // 000000009880: 7F061183
	v_perm_b32 v128, v129, v128, s53                           // 000000009884: D1ED0080 00D70181
	v_perm_b32 v128, v130, v128, s54                           // 00000000988C: D1ED0080 00DB0182
	v_perm_b32 v128, v131, v128, s55                           // 000000009894: D1ED0080 00DF0183
	v_mul_f32_e32 v132, v23, v132                              // 00000000989C: 0B090917
	v_mul_f32_e32 v133, v23, v133                              // 0000000098A0: 0B0B0B17
	v_mul_f32_e32 v134, v23, v134                              // 0000000098A4: 0B0D0D17
	v_mul_f32_e32 v135, v23, v135                              // 0000000098A8: 0B0F0F17
	v_cvt_i32_f32_e32 v132, v132                               // 0000000098AC: 7F081184
	v_cvt_i32_f32_e32 v133, v133                               // 0000000098B0: 7F0A1185
	v_cvt_i32_f32_e32 v134, v134                               // 0000000098B4: 7F0C1186
	v_cvt_i32_f32_e32 v135, v135                               // 0000000098B8: 7F0E1187
	v_perm_b32 v129, v133, v132, s53                           // 0000000098BC: D1ED0081 00D70985
	v_perm_b32 v129, v134, v129, s54                           // 0000000098C4: D1ED0081 00DB0386
	v_perm_b32 v129, v135, v129, s55                           // 0000000098CC: D1ED0081 00DF0387
	v_mul_f32_e32 v136, v22, v136                              // 0000000098D4: 0B111116
	v_mul_f32_e32 v137, v22, v137                              // 0000000098D8: 0B131316
	v_mul_f32_e32 v138, v22, v138                              // 0000000098DC: 0B151516
	v_mul_f32_e32 v139, v22, v139                              // 0000000098E0: 0B171716
	v_cvt_i32_f32_e32 v136, v136                               // 0000000098E4: 7F101188
	v_cvt_i32_f32_e32 v137, v137                               // 0000000098E8: 7F121189
	v_cvt_i32_f32_e32 v138, v138                               // 0000000098EC: 7F14118A
	v_cvt_i32_f32_e32 v139, v139                               // 0000000098F0: 7F16118B
	v_perm_b32 v130, v137, v136, s53                           // 0000000098F4: D1ED0082 00D71189
	v_perm_b32 v130, v138, v130, s54                           // 0000000098FC: D1ED0082 00DB058A
	v_perm_b32 v130, v139, v130, s55                           // 000000009904: D1ED0082 00DF058B
	v_mul_f32_e32 v140, v23, v140                              // 00000000990C: 0B191917
	v_mul_f32_e32 v141, v23, v141                              // 000000009910: 0B1B1B17
	v_mul_f32_e32 v142, v23, v142                              // 000000009914: 0B1D1D17
	v_mul_f32_e32 v143, v23, v143                              // 000000009918: 0B1F1F17
	v_cvt_i32_f32_e32 v140, v140                               // 00000000991C: 7F18118C
	v_cvt_i32_f32_e32 v141, v141                               // 000000009920: 7F1A118D
	v_cvt_i32_f32_e32 v142, v142                               // 000000009924: 7F1C118E
	v_cvt_i32_f32_e32 v143, v143                               // 000000009928: 7F1E118F
	v_perm_b32 v131, v141, v140, s53                           // 00000000992C: D1ED0083 00D7198D
	v_perm_b32 v131, v142, v131, s54                           // 000000009934: D1ED0083 00DB078E
	v_perm_b32 v131, v143, v131, s55                           // 00000000993C: D1ED0083 00DF078F
	v_mul_f32_e32 v144, v22, v144                              // 000000009944: 0B212116
	v_mul_f32_e32 v145, v22, v145                              // 000000009948: 0B232316
	v_mul_f32_e32 v146, v22, v146                              // 00000000994C: 0B252516
	v_mul_f32_e32 v147, v22, v147                              // 000000009950: 0B272716
	v_cvt_i32_f32_e32 v144, v144                               // 000000009954: 7F201190
	v_cvt_i32_f32_e32 v145, v145                               // 000000009958: 7F221191
	v_cvt_i32_f32_e32 v146, v146                               // 00000000995C: 7F241192
	v_cvt_i32_f32_e32 v147, v147                               // 000000009960: 7F261193
	v_perm_b32 v132, v145, v144, s53                           // 000000009964: D1ED0084 00D72191
	v_perm_b32 v132, v146, v132, s54                           // 00000000996C: D1ED0084 00DB0992
	v_perm_b32 v132, v147, v132, s55                           // 000000009974: D1ED0084 00DF0993
	v_mul_f32_e32 v148, v23, v148                              // 00000000997C: 0B292917
	v_mul_f32_e32 v149, v23, v149                              // 000000009980: 0B2B2B17
	v_mul_f32_e32 v150, v23, v150                              // 000000009984: 0B2D2D17
	v_mul_f32_e32 v151, v23, v151                              // 000000009988: 0B2F2F17
	v_cvt_i32_f32_e32 v148, v148                               // 00000000998C: 7F281194
	v_cvt_i32_f32_e32 v149, v149                               // 000000009990: 7F2A1195
	v_cvt_i32_f32_e32 v150, v150                               // 000000009994: 7F2C1196
	v_cvt_i32_f32_e32 v151, v151                               // 000000009998: 7F2E1197
	v_perm_b32 v133, v149, v148, s53                           // 00000000999C: D1ED0085 00D72995
	v_perm_b32 v133, v150, v133, s54                           // 0000000099A4: D1ED0085 00DB0B96
	v_perm_b32 v133, v151, v133, s55                           // 0000000099AC: D1ED0085 00DF0B97
	v_mul_f32_e32 v152, v22, v152                              // 0000000099B4: 0B313116
	v_mul_f32_e32 v153, v22, v153                              // 0000000099B8: 0B333316
	v_mul_f32_e32 v154, v22, v154                              // 0000000099BC: 0B353516
	v_mul_f32_e32 v155, v22, v155                              // 0000000099C0: 0B373716
	v_cvt_i32_f32_e32 v152, v152                               // 0000000099C4: 7F301198
	v_cvt_i32_f32_e32 v153, v153                               // 0000000099C8: 7F321199
	v_cvt_i32_f32_e32 v154, v154                               // 0000000099CC: 7F34119A
	v_cvt_i32_f32_e32 v155, v155                               // 0000000099D0: 7F36119B
	v_perm_b32 v134, v153, v152, s53                           // 0000000099D4: D1ED0086 00D73199
	v_perm_b32 v134, v154, v134, s54                           // 0000000099DC: D1ED0086 00DB0D9A
	v_perm_b32 v134, v155, v134, s55                           // 0000000099E4: D1ED0086 00DF0D9B
	v_mul_f32_e32 v156, v23, v156                              // 0000000099EC: 0B393917
	v_mul_f32_e32 v157, v23, v157                              // 0000000099F0: 0B3B3B17
	v_mul_f32_e32 v158, v23, v158                              // 0000000099F4: 0B3D3D17
	v_mul_f32_e32 v159, v23, v159                              // 0000000099F8: 0B3F3F17
	v_cvt_i32_f32_e32 v156, v156                               // 0000000099FC: 7F38119C
	v_cvt_i32_f32_e32 v157, v157                               // 000000009A00: 7F3A119D
	v_cvt_i32_f32_e32 v158, v158                               // 000000009A04: 7F3C119E
	v_cvt_i32_f32_e32 v159, v159                               // 000000009A08: 7F3E119F
	v_perm_b32 v135, v157, v156, s53                           // 000000009A0C: D1ED0087 00D7399D
	v_perm_b32 v135, v158, v135, s54                           // 000000009A14: D1ED0087 00DB0F9E
	v_perm_b32 v135, v159, v135, s55                           // 000000009A1C: D1ED0087 00DF0F9F
	v_mul_f32_e32 v160, v22, v160                              // 000000009A24: 0B414116
	v_mul_f32_e32 v161, v22, v161                              // 000000009A28: 0B434316
	v_mul_f32_e32 v162, v22, v162                              // 000000009A2C: 0B454516
	v_mul_f32_e32 v163, v22, v163                              // 000000009A30: 0B474716
	v_cvt_i32_f32_e32 v160, v160                               // 000000009A34: 7F4011A0
	v_cvt_i32_f32_e32 v161, v161                               // 000000009A38: 7F4211A1
	v_cvt_i32_f32_e32 v162, v162                               // 000000009A3C: 7F4411A2
	v_cvt_i32_f32_e32 v163, v163                               // 000000009A40: 7F4611A3
	v_perm_b32 v136, v161, v160, s53                           // 000000009A44: D1ED0088 00D741A1
	v_perm_b32 v136, v162, v136, s54                           // 000000009A4C: D1ED0088 00DB11A2
	v_perm_b32 v136, v163, v136, s55                           // 000000009A54: D1ED0088 00DF11A3
	v_mul_f32_e32 v164, v23, v164                              // 000000009A5C: 0B494917
	v_mul_f32_e32 v165, v23, v165                              // 000000009A60: 0B4B4B17
	v_mul_f32_e32 v166, v23, v166                              // 000000009A64: 0B4D4D17
	v_mul_f32_e32 v167, v23, v167                              // 000000009A68: 0B4F4F17
	v_cvt_i32_f32_e32 v164, v164                               // 000000009A6C: 7F4811A4
	v_cvt_i32_f32_e32 v165, v165                               // 000000009A70: 7F4A11A5
	v_cvt_i32_f32_e32 v166, v166                               // 000000009A74: 7F4C11A6
	v_cvt_i32_f32_e32 v167, v167                               // 000000009A78: 7F4E11A7
	v_perm_b32 v137, v165, v164, s53                           // 000000009A7C: D1ED0089 00D749A5
	v_perm_b32 v137, v166, v137, s54                           // 000000009A84: D1ED0089 00DB13A6
	v_perm_b32 v137, v167, v137, s55                           // 000000009A8C: D1ED0089 00DF13A7
	v_mul_f32_e32 v168, v22, v168                              // 000000009A94: 0B515116
	v_mul_f32_e32 v169, v22, v169                              // 000000009A98: 0B535316
	v_mul_f32_e32 v170, v22, v170                              // 000000009A9C: 0B555516
	v_mul_f32_e32 v171, v22, v171                              // 000000009AA0: 0B575716
	v_cvt_i32_f32_e32 v168, v168                               // 000000009AA4: 7F5011A8
	v_cvt_i32_f32_e32 v169, v169                               // 000000009AA8: 7F5211A9
	v_cvt_i32_f32_e32 v170, v170                               // 000000009AAC: 7F5411AA
	v_cvt_i32_f32_e32 v171, v171                               // 000000009AB0: 7F5611AB
	v_perm_b32 v138, v169, v168, s53                           // 000000009AB4: D1ED008A 00D751A9
	v_perm_b32 v138, v170, v138, s54                           // 000000009ABC: D1ED008A 00DB15AA
	v_perm_b32 v138, v171, v138, s55                           // 000000009AC4: D1ED008A 00DF15AB
	v_mul_f32_e32 v172, v23, v172                              // 000000009ACC: 0B595917
	v_mul_f32_e32 v173, v23, v173                              // 000000009AD0: 0B5B5B17
	v_mul_f32_e32 v174, v23, v174                              // 000000009AD4: 0B5D5D17
	v_mul_f32_e32 v175, v23, v175                              // 000000009AD8: 0B5F5F17
	v_cvt_i32_f32_e32 v172, v172                               // 000000009ADC: 7F5811AC
	v_cvt_i32_f32_e32 v173, v173                               // 000000009AE0: 7F5A11AD
	v_cvt_i32_f32_e32 v174, v174                               // 000000009AE4: 7F5C11AE
	v_cvt_i32_f32_e32 v175, v175                               // 000000009AE8: 7F5E11AF
	v_perm_b32 v139, v173, v172, s53                           // 000000009AEC: D1ED008B 00D759AD
	v_perm_b32 v139, v174, v139, s54                           // 000000009AF4: D1ED008B 00DB17AE
	v_perm_b32 v139, v175, v139, s55                           // 000000009AFC: D1ED008B 00DF17AF
	v_mul_f32_e32 v176, v22, v176                              // 000000009B04: 0B616116
	v_mul_f32_e32 v177, v22, v177                              // 000000009B08: 0B636316
	v_mul_f32_e32 v178, v22, v178                              // 000000009B0C: 0B656516
	v_mul_f32_e32 v179, v22, v179                              // 000000009B10: 0B676716
	v_cvt_i32_f32_e32 v176, v176                               // 000000009B14: 7F6011B0
	v_cvt_i32_f32_e32 v177, v177                               // 000000009B18: 7F6211B1
	v_cvt_i32_f32_e32 v178, v178                               // 000000009B1C: 7F6411B2
	v_cvt_i32_f32_e32 v179, v179                               // 000000009B20: 7F6611B3
	v_perm_b32 v140, v177, v176, s53                           // 000000009B24: D1ED008C 00D761B1
	v_perm_b32 v140, v178, v140, s54                           // 000000009B2C: D1ED008C 00DB19B2
	v_perm_b32 v140, v179, v140, s55                           // 000000009B34: D1ED008C 00DF19B3
	v_mul_f32_e32 v180, v23, v180                              // 000000009B3C: 0B696917
	v_mul_f32_e32 v181, v23, v181                              // 000000009B40: 0B6B6B17
	v_mul_f32_e32 v182, v23, v182                              // 000000009B44: 0B6D6D17
	v_mul_f32_e32 v183, v23, v183                              // 000000009B48: 0B6F6F17
	v_cvt_i32_f32_e32 v180, v180                               // 000000009B4C: 7F6811B4
	v_cvt_i32_f32_e32 v181, v181                               // 000000009B50: 7F6A11B5
	v_cvt_i32_f32_e32 v182, v182                               // 000000009B54: 7F6C11B6
	v_cvt_i32_f32_e32 v183, v183                               // 000000009B58: 7F6E11B7
	v_perm_b32 v141, v181, v180, s53                           // 000000009B5C: D1ED008D 00D769B5
	v_perm_b32 v141, v182, v141, s54                           // 000000009B64: D1ED008D 00DB1BB6
	v_perm_b32 v141, v183, v141, s55                           // 000000009B6C: D1ED008D 00DF1BB7
	v_mul_f32_e32 v184, v22, v184                              // 000000009B74: 0B717116
	v_mul_f32_e32 v185, v22, v185                              // 000000009B78: 0B737316
	v_mul_f32_e32 v186, v22, v186                              // 000000009B7C: 0B757516
	v_mul_f32_e32 v187, v22, v187                              // 000000009B80: 0B777716
	v_cvt_i32_f32_e32 v184, v184                               // 000000009B84: 7F7011B8
	v_cvt_i32_f32_e32 v185, v185                               // 000000009B88: 7F7211B9
	v_cvt_i32_f32_e32 v186, v186                               // 000000009B8C: 7F7411BA
	v_cvt_i32_f32_e32 v187, v187                               // 000000009B90: 7F7611BB
	v_perm_b32 v142, v185, v184, s53                           // 000000009B94: D1ED008E 00D771B9
	v_perm_b32 v142, v186, v142, s54                           // 000000009B9C: D1ED008E 00DB1DBA
	v_perm_b32 v142, v187, v142, s55                           // 000000009BA4: D1ED008E 00DF1DBB
	v_mul_f32_e32 v188, v23, v188                              // 000000009BAC: 0B797917
	v_mul_f32_e32 v189, v23, v189                              // 000000009BB0: 0B7B7B17
	v_mul_f32_e32 v190, v23, v190                              // 000000009BB4: 0B7D7D17
	v_mul_f32_e32 v191, v23, v191                              // 000000009BB8: 0B7F7F17
	v_cvt_i32_f32_e32 v188, v188                               // 000000009BBC: 7F7811BC
	v_cvt_i32_f32_e32 v189, v189                               // 000000009BC0: 7F7A11BD
	v_cvt_i32_f32_e32 v190, v190                               // 000000009BC4: 7F7C11BE
	v_cvt_i32_f32_e32 v191, v191                               // 000000009BC8: 7F7E11BF
	v_perm_b32 v143, v189, v188, s53                           // 000000009BCC: D1ED008F 00D779BD
	v_perm_b32 v143, v190, v143, s54                           // 000000009BD4: D1ED008F 00DB1FBE
	v_perm_b32 v143, v191, v143, s55                           // 000000009BDC: D1ED008F 00DF1FBF
	v_rcp_f32_e32 v24, v22                                     // 000000009BE4: 7E304516
	v_rcp_f32_e32 v25, v23                                     // 000000009BE8: 7E324517
	v_lshrrev_b32_e32 v50, 5, v0                               // 000000009BEC: 20640085
	v_lshlrev_b32_e32 v51, 5, v50                              // 000000009BF0: 24666485
	v_and_b32_e32 v50, 31, v0                                  // 000000009BF4: 2664009F
	v_lshrrev_b32_e32 v52, 4, v50                              // 000000009BF8: 20686484
	v_add_u32_e32 v51, v52, v51                                // 000000009BFC: 68666734
	v_and_b32_e32 v50, 15, v0                                  // 000000009C00: 2664008F
	v_lshlrev_b32_e32 v50, 1, v50                              // 000000009C04: 24646481
	v_add_u32_e32 v51, v50, v51                                // 000000009C08: 68666732
	v_lshlrev_b32_e32 v50, 2, v51                              // 000000009C0C: 24646682
	s_mul_i32 s60, 0x100, s7                                   // 000000009C10: 923C07FF 00000100
	v_add_u32_e64 v50, v50, s60                                // 000000009C18: D1340032 00007932
	ds_write_b32 v50, v128 offset:18688                        // 000000009C20: D81A4900 00008032
	ds_write_b32 v50, v129 offset:26880                        // 000000009C28: D81A6900 00008132
	ds_write_b32 v50, v130 offset:19712                        // 000000009C30: D81A4D00 00008232
	ds_write_b32 v50, v131 offset:27904                        // 000000009C38: D81A6D00 00008332
	ds_write_b32 v50, v132 offset:20736                        // 000000009C40: D81A5100 00008432
	ds_write_b32 v50, v133 offset:28928                        // 000000009C48: D81A7100 00008532
	ds_write_b32 v50, v134 offset:21760                        // 000000009C50: D81A5500 00008632
	ds_write_b32 v50, v135 offset:29952                        // 000000009C58: D81A7500 00008732
	ds_write_b32 v50, v136 offset:22784                        // 000000009C60: D81A5900 00008832
	ds_write_b32 v50, v137 offset:30976                        // 000000009C68: D81A7900 00008932
	ds_write_b32 v50, v138 offset:23808                        // 000000009C70: D81A5D00 00008A32
	ds_write_b32 v50, v139 offset:32000                        // 000000009C78: D81A7D00 00008B32
	ds_write_b32 v50, v140 offset:24832                        // 000000009C80: D81A6100 00008C32
	ds_write_b32 v50, v141 offset:33024                        // 000000009C88: D81A8100 00008D32
	ds_write_b32 v50, v142 offset:25856                        // 000000009C90: D81A6500 00008E32
	ds_write_b32 v50, v143 offset:34048                        // 000000009C98: D81A8500 00008F32
	s_waitcnt lgkmcnt(0)                                       // 000000009CA0: BF8CC07F
	s_barrier                                                  // 000000009CA4: BF8A0000
	v_lshrrev_b32_e32 v50, 4, v0                               // 000000009CA8: 20640084
	v_lshlrev_b32_e32 v51, 6, v50                              // 000000009CAC: 24666486
	v_and_b32_e32 v50, 15, v0                                  // 000000009CB0: 2664008F
	v_lshlrev_b32_e32 v50, 1, v50                              // 000000009CB4: 24646481
	v_add_u32_e32 v51, v50, v51                                // 000000009CB8: 68666732
	v_lshlrev_b32_e32 v50, 2, v51                              // 000000009CBC: 24646682
	ds_read_b64 v[128:129], v50 offset:18688                   // 000000009CC0: D8EC4900 80000032
	ds_read_b64 v[130:131], v50 offset:18816                   // 000000009CC8: D8EC4980 82000032
	ds_read_b64 v[132:133], v50 offset:19712                   // 000000009CD0: D8EC4D00 84000032
	ds_read_b64 v[134:135], v50 offset:19840                   // 000000009CD8: D8EC4D80 86000032
	ds_read_b64 v[136:137], v50 offset:20736                   // 000000009CE0: D8EC5100 88000032
	ds_read_b64 v[138:139], v50 offset:20864                   // 000000009CE8: D8EC5180 8A000032
	ds_read_b64 v[140:141], v50 offset:21760                   // 000000009CF0: D8EC5500 8C000032
	ds_read_b64 v[142:143], v50 offset:21888                   // 000000009CF8: D8EC5580 8E000032
	ds_read_b64 v[144:145], v50 offset:22784                   // 000000009D00: D8EC5900 90000032
	ds_read_b64 v[146:147], v50 offset:22912                   // 000000009D08: D8EC5980 92000032
	ds_read_b64 v[148:149], v50 offset:23808                   // 000000009D10: D8EC5D00 94000032
	ds_read_b64 v[150:151], v50 offset:23936                   // 000000009D18: D8EC5D80 96000032
	ds_read_b64 v[152:153], v50 offset:24832                   // 000000009D20: D8EC6100 98000032
	ds_read_b64 v[154:155], v50 offset:24960                   // 000000009D28: D8EC6180 9A000032
	ds_read_b64 v[156:157], v50 offset:25856                   // 000000009D30: D8EC6500 9C000032
	ds_read_b64 v[158:159], v50 offset:25984                   // 000000009D38: D8EC6580 9E000032
	ds_read_b64 v[160:161], v50 offset:26880                   // 000000009D40: D8EC6900 A0000032
	ds_read_b64 v[162:163], v50 offset:27008                   // 000000009D48: D8EC6980 A2000032
	ds_read_b64 v[164:165], v50 offset:27904                   // 000000009D50: D8EC6D00 A4000032
	ds_read_b64 v[166:167], v50 offset:28032                   // 000000009D58: D8EC6D80 A6000032
	ds_read_b64 v[168:169], v50 offset:28928                   // 000000009D60: D8EC7100 A8000032
	ds_read_b64 v[170:171], v50 offset:29056                   // 000000009D68: D8EC7180 AA000032
	ds_read_b64 v[172:173], v50 offset:29952                   // 000000009D70: D8EC7500 AC000032
	ds_read_b64 v[174:175], v50 offset:30080                   // 000000009D78: D8EC7580 AE000032
	ds_read_b64 v[176:177], v50 offset:30976                   // 000000009D80: D8EC7900 B0000032
	ds_read_b64 v[178:179], v50 offset:31104                   // 000000009D88: D8EC7980 B2000032
	ds_read_b64 v[180:181], v50 offset:32000                   // 000000009D90: D8EC7D00 B4000032
	ds_read_b64 v[182:183], v50 offset:32128                   // 000000009D98: D8EC7D80 B6000032
	ds_read_b64 v[184:185], v50 offset:33024                   // 000000009DA0: D8EC8100 B8000032
	ds_read_b64 v[186:187], v50 offset:33152                   // 000000009DA8: D8EC8180 BA000032
	ds_read_b64 v[188:189], v50 offset:34048                   // 000000009DB0: D8EC8500 BC000032
	ds_read_b64 v[190:191], v50 offset:34176                   // 000000009DB8: D8EC8580 BE000032
	s_add_u32 s12, s56, s12                                    // 000000009DC0: 800C0C38
	s_addc_u32 s13, 0, s13                                     // 000000009DC4: 820D0D80
	s_add_u32 s16, s79, s16                                    // 000000009DC8: 8010104F
	s_addc_u32 s17, 0, s17                                     // 000000009DCC: 82111180
	s_mov_b32 s80, 0                                           // 000000009DD0: BED00080
	s_waitcnt vmcnt(0) expcnt(0) lgkmcnt(0)                    // 000000009DD4: BF8C0000

0000000000009dd8 <label_1CB6>:
	s_waitcnt vmcnt(45)                                        // 000000009DD8: BF8C8F7D
	s_barrier                                                  // 000000009DDC: BF8A0000
	v_mfma_i32_16x16x32_i8 v[192:195], a[0:1], v[128:129], 0   // 000000009DE0: D3D700C0 0A030100
	buffer_load_dwordx4 a[128:131], v42, s[12:15], 0 offen     // 000000009DE8: E05C1000 8083802A
	v_mfma_i32_16x16x32_i8 v[192:195], a[2:3], v[130:131], v[192:195]// 000000009DF0: D3D700C0 0F030502
	v_mfma_i32_16x16x32_i8 v[196:199], a[0:1], v[160:161], 0   // 000000009DF8: D3D700C4 0A034100
	v_mfma_i32_16x16x32_i8 v[196:199], a[2:3], v[162:163], v[196:199]// 000000009E00: D3D700C4 0F134502
	v_mfma_i32_16x16x32_i8 v[200:203], a[4:5], v[128:129], 0   // 000000009E08: D3D700C8 0A030104
	buffer_load_dwordx4 a[132:135], v43, s[12:15], 0 offen     // 000000009E10: E05C1000 8083842B
	v_mfma_i32_16x16x32_i8 v[200:203], a[6:7], v[130:131], v[200:203]// 000000009E18: D3D700C8 0F230506
	v_mfma_i32_16x16x32_i8 v[204:207], a[4:5], v[160:161], 0   // 000000009E20: D3D700CC 0A034104
	v_mfma_i32_16x16x32_i8 v[204:207], a[6:7], v[162:163], v[204:207]// 000000009E28: D3D700CC 0F334506
	v_mfma_i32_16x16x32_i8 v[208:211], a[8:9], v[128:129], 0   // 000000009E30: D3D700D0 0A030108
	buffer_load_dwordx4 a[136:139], v44, s[12:15], 0 offen     // 000000009E38: E05C1000 8083882C
	v_mfma_i32_16x16x32_i8 v[208:211], a[10:11], v[130:131], v[208:211]// 000000009E40: D3D700D0 0F43050A
	v_mfma_i32_16x16x32_i8 v[212:215], a[8:9], v[160:161], 0   // 000000009E48: D3D700D4 0A034108
	v_mfma_i32_16x16x32_i8 v[212:215], a[10:11], v[162:163], v[212:215]// 000000009E50: D3D700D4 0F53450A
	v_mfma_i32_16x16x32_i8 v[216:219], a[12:13], v[128:129], 0 // 000000009E58: D3D700D8 0A03010C
	buffer_load_dwordx4 a[140:143], v45, s[12:15], 0 offen     // 000000009E60: E05C1000 80838C2D
	s_add_u32 s12, s78, s12                                    // 000000009E68: 800C0C4E
	s_addc_u32 s13, 0, s13                                     // 000000009E6C: 820D0D80
	v_mfma_i32_16x16x32_i8 v[216:219], a[14:15], v[130:131], v[216:219]// 000000009E70: D3D700D8 0F63050E
	v_mfma_i32_16x16x32_i8 v[220:223], a[12:13], v[160:161], 0 // 000000009E78: D3D700DC 0A03410C
	v_mfma_i32_16x16x32_i8 v[220:223], a[14:15], v[162:163], v[220:223]// 000000009E80: D3D700DC 0F73450E
	s_waitcnt vmcnt(45)                                        // 000000009E88: BF8C8F7D
	v_mfma_i32_16x16x32_i8 v[192:195], a[16:17], v[132:133], v[192:195]// 000000009E8C: D3D700C0 0F030910
	buffer_load_dwordx4 a[144:147], v42, s[12:15], 0 offen     // 000000009E94: E05C1000 8083902A
	v_mfma_i32_16x16x32_i8 v[192:195], a[18:19], v[134:135], v[192:195]// 000000009E9C: D3D700C0 0F030D12
	v_mfma_i32_16x16x32_i8 v[196:199], a[16:17], v[164:165], v[196:199]// 000000009EA4: D3D700C4 0F134910
	v_mfma_i32_16x16x32_i8 v[196:199], a[18:19], v[166:167], v[196:199]// 000000009EAC: D3D700C4 0F134D12
	v_mfma_i32_16x16x32_i8 v[200:203], a[20:21], v[132:133], v[200:203]// 000000009EB4: D3D700C8 0F230914
	buffer_load_dwordx4 a[148:151], v43, s[12:15], 0 offen     // 000000009EBC: E05C1000 8083942B
	v_mfma_i32_16x16x32_i8 v[200:203], a[22:23], v[134:135], v[200:203]// 000000009EC4: D3D700C8 0F230D16
	v_mfma_i32_16x16x32_i8 v[204:207], a[20:21], v[164:165], v[204:207]// 000000009ECC: D3D700CC 0F334914
	v_mfma_i32_16x16x32_i8 v[204:207], a[22:23], v[166:167], v[204:207]// 000000009ED4: D3D700CC 0F334D16
	v_mfma_i32_16x16x32_i8 v[208:211], a[24:25], v[132:133], v[208:211]// 000000009EDC: D3D700D0 0F430918
	buffer_load_dwordx4 a[152:155], v44, s[12:15], 0 offen     // 000000009EE4: E05C1000 8083982C
	v_mfma_i32_16x16x32_i8 v[208:211], a[26:27], v[134:135], v[208:211]// 000000009EEC: D3D700D0 0F430D1A
	v_mfma_i32_16x16x32_i8 v[212:215], a[24:25], v[164:165], v[212:215]// 000000009EF4: D3D700D4 0F534918
	v_mfma_i32_16x16x32_i8 v[212:215], a[26:27], v[166:167], v[212:215]// 000000009EFC: D3D700D4 0F534D1A
	v_mfma_i32_16x16x32_i8 v[216:219], a[28:29], v[132:133], v[216:219]// 000000009F04: D3D700D8 0F63091C
	buffer_load_dwordx4 a[156:159], v45, s[12:15], 0 offen     // 000000009F0C: E05C1000 80839C2D
	s_add_u32 s12, s78, s12                                    // 000000009F14: 800C0C4E
	s_addc_u32 s13, 0, s13                                     // 000000009F18: 820D0D80
	v_mfma_i32_16x16x32_i8 v[216:219], a[30:31], v[134:135], v[216:219]// 000000009F1C: D3D700D8 0F630D1E
	v_mfma_i32_16x16x32_i8 v[220:223], a[28:29], v[164:165], v[220:223]// 000000009F24: D3D700DC 0F73491C
	v_mfma_i32_16x16x32_i8 v[220:223], a[30:31], v[166:167], v[220:223]// 000000009F2C: D3D700DC 0F734D1E
	s_waitcnt vmcnt(45)                                        // 000000009F34: BF8C8F7D
	v_mfma_i32_16x16x32_i8 v[192:195], a[32:33], v[136:137], v[192:195]// 000000009F38: D3D700C0 0F031120
	buffer_load_dwordx4 a[160:163], v42, s[12:15], 0 offen     // 000000009F40: E05C1000 8083A02A
	v_mfma_i32_16x16x32_i8 v[192:195], a[34:35], v[138:139], v[192:195]// 000000009F48: D3D700C0 0F031522
	v_mfma_i32_16x16x32_i8 v[196:199], a[32:33], v[168:169], v[196:199]// 000000009F50: D3D700C4 0F135120
	v_mfma_i32_16x16x32_i8 v[196:199], a[34:35], v[170:171], v[196:199]// 000000009F58: D3D700C4 0F135522
	v_mfma_i32_16x16x32_i8 v[200:203], a[36:37], v[136:137], v[200:203]// 000000009F60: D3D700C8 0F231124
	buffer_load_dwordx4 a[164:167], v43, s[12:15], 0 offen     // 000000009F68: E05C1000 8083A42B
	v_mfma_i32_16x16x32_i8 v[200:203], a[38:39], v[138:139], v[200:203]// 000000009F70: D3D700C8 0F231526
	v_mfma_i32_16x16x32_i8 v[204:207], a[36:37], v[168:169], v[204:207]// 000000009F78: D3D700CC 0F335124
	v_mfma_i32_16x16x32_i8 v[204:207], a[38:39], v[170:171], v[204:207]// 000000009F80: D3D700CC 0F335526
	v_mfma_i32_16x16x32_i8 v[208:211], a[40:41], v[136:137], v[208:211]// 000000009F88: D3D700D0 0F431128
	buffer_load_dwordx4 a[168:171], v44, s[12:15], 0 offen     // 000000009F90: E05C1000 8083A82C
	v_mfma_i32_16x16x32_i8 v[208:211], a[42:43], v[138:139], v[208:211]// 000000009F98: D3D700D0 0F43152A
	v_mfma_i32_16x16x32_i8 v[212:215], a[40:41], v[168:169], v[212:215]// 000000009FA0: D3D700D4 0F535128
	v_mfma_i32_16x16x32_i8 v[212:215], a[42:43], v[170:171], v[212:215]// 000000009FA8: D3D700D4 0F53552A
	v_mfma_i32_16x16x32_i8 v[216:219], a[44:45], v[136:137], v[216:219]// 000000009FB0: D3D700D8 0F63112C
	buffer_load_dwordx4 a[172:175], v45, s[12:15], 0 offen     // 000000009FB8: E05C1000 8083AC2D
	s_add_u32 s12, s78, s12                                    // 000000009FC0: 800C0C4E
	s_addc_u32 s13, 0, s13                                     // 000000009FC4: 820D0D80
	v_mfma_i32_16x16x32_i8 v[216:219], a[46:47], v[138:139], v[216:219]// 000000009FC8: D3D700D8 0F63152E
	v_mfma_i32_16x16x32_i8 v[220:223], a[44:45], v[168:169], v[220:223]// 000000009FD0: D3D700DC 0F73512C
	v_mfma_i32_16x16x32_i8 v[220:223], a[46:47], v[170:171], v[220:223]// 000000009FD8: D3D700DC 0F73552E
	s_waitcnt vmcnt(45)                                        // 000000009FE0: BF8C8F7D
	v_mfma_i32_16x16x32_i8 v[192:195], a[48:49], v[140:141], v[192:195]// 000000009FE4: D3D700C0 0F031930
	buffer_load_dwordx4 a[176:179], v42, s[12:15], 0 offen     // 000000009FEC: E05C1000 8083B02A
	v_mfma_i32_16x16x32_i8 v[192:195], a[50:51], v[142:143], v[192:195]// 000000009FF4: D3D700C0 0F031D32
	v_mfma_i32_16x16x32_i8 v[196:199], a[48:49], v[172:173], v[196:199]// 000000009FFC: D3D700C4 0F135930
	v_mfma_i32_16x16x32_i8 v[196:199], a[50:51], v[174:175], v[196:199]// 00000000A004: D3D700C4 0F135D32
	v_mfma_i32_16x16x32_i8 v[200:203], a[52:53], v[140:141], v[200:203]// 00000000A00C: D3D700C8 0F231934
	buffer_load_dwordx4 a[180:183], v43, s[12:15], 0 offen     // 00000000A014: E05C1000 8083B42B
	v_mfma_i32_16x16x32_i8 v[200:203], a[54:55], v[142:143], v[200:203]// 00000000A01C: D3D700C8 0F231D36
	v_mfma_i32_16x16x32_i8 v[204:207], a[52:53], v[172:173], v[204:207]// 00000000A024: D3D700CC 0F335934
	v_mfma_i32_16x16x32_i8 v[204:207], a[54:55], v[174:175], v[204:207]// 00000000A02C: D3D700CC 0F335D36
	v_mfma_i32_16x16x32_i8 v[208:211], a[56:57], v[140:141], v[208:211]// 00000000A034: D3D700D0 0F431938
	buffer_load_dwordx4 a[184:187], v44, s[12:15], 0 offen     // 00000000A03C: E05C1000 8083B82C
	v_mfma_i32_16x16x32_i8 v[208:211], a[58:59], v[142:143], v[208:211]// 00000000A044: D3D700D0 0F431D3A
	v_mfma_i32_16x16x32_i8 v[212:215], a[56:57], v[172:173], v[212:215]// 00000000A04C: D3D700D4 0F535938
	v_mfma_i32_16x16x32_i8 v[212:215], a[58:59], v[174:175], v[212:215]// 00000000A054: D3D700D4 0F535D3A
	v_mfma_i32_16x16x32_i8 v[216:219], a[60:61], v[140:141], v[216:219]// 00000000A05C: D3D700D8 0F63193C
	buffer_load_dwordx4 a[188:191], v45, s[12:15], 0 offen     // 00000000A064: E05C1000 8083BC2D
	s_add_u32 s12, s78, s12                                    // 00000000A06C: 800C0C4E
	s_addc_u32 s13, 0, s13                                     // 00000000A070: 820D0D80
	v_mfma_i32_16x16x32_i8 v[216:219], a[62:63], v[142:143], v[216:219]// 00000000A074: D3D700D8 0F631D3E
	v_mfma_i32_16x16x32_i8 v[220:223], a[60:61], v[172:173], v[220:223]// 00000000A07C: D3D700DC 0F73593C
	v_mfma_i32_16x16x32_i8 v[220:223], a[62:63], v[174:175], v[220:223]// 00000000A084: D3D700DC 0F735D3E
	s_waitcnt vmcnt(45)                                        // 00000000A08C: BF8C8F7D
	v_mfma_i32_16x16x32_i8 v[192:195], a[64:65], v[144:145], v[192:195]// 00000000A090: D3D700C0 0F032140
	buffer_load_dwordx4 a[192:195], v42, s[12:15], 0 offen     // 00000000A098: E05C1000 8083C02A
	v_mfma_i32_16x16x32_i8 v[192:195], a[66:67], v[146:147], v[192:195]// 00000000A0A0: D3D700C0 0F032542
	v_mfma_i32_16x16x32_i8 v[196:199], a[64:65], v[176:177], v[196:199]// 00000000A0A8: D3D700C4 0F136140
	v_mfma_i32_16x16x32_i8 v[196:199], a[66:67], v[178:179], v[196:199]// 00000000A0B0: D3D700C4 0F136542
	v_mfma_i32_16x16x32_i8 v[200:203], a[68:69], v[144:145], v[200:203]// 00000000A0B8: D3D700C8 0F232144
	buffer_load_dwordx4 a[196:199], v43, s[12:15], 0 offen     // 00000000A0C0: E05C1000 8083C42B
	v_mfma_i32_16x16x32_i8 v[200:203], a[70:71], v[146:147], v[200:203]// 00000000A0C8: D3D700C8 0F232546
	v_mfma_i32_16x16x32_i8 v[204:207], a[68:69], v[176:177], v[204:207]// 00000000A0D0: D3D700CC 0F336144
	v_mfma_i32_16x16x32_i8 v[204:207], a[70:71], v[178:179], v[204:207]// 00000000A0D8: D3D700CC 0F336546
	v_mfma_i32_16x16x32_i8 v[208:211], a[72:73], v[144:145], v[208:211]// 00000000A0E0: D3D700D0 0F432148
	buffer_load_dwordx4 a[200:203], v44, s[12:15], 0 offen     // 00000000A0E8: E05C1000 8083C82C
	v_mfma_i32_16x16x32_i8 v[208:211], a[74:75], v[146:147], v[208:211]// 00000000A0F0: D3D700D0 0F43254A
	v_mfma_i32_16x16x32_i8 v[212:215], a[72:73], v[176:177], v[212:215]// 00000000A0F8: D3D700D4 0F536148
	v_mfma_i32_16x16x32_i8 v[212:215], a[74:75], v[178:179], v[212:215]// 00000000A100: D3D700D4 0F53654A
	v_mfma_i32_16x16x32_i8 v[216:219], a[76:77], v[144:145], v[216:219]// 00000000A108: D3D700D8 0F63214C
	buffer_load_dwordx4 a[204:207], v45, s[12:15], 0 offen     // 00000000A110: E05C1000 8083CC2D
	s_add_u32 s12, s78, s12                                    // 00000000A118: 800C0C4E
	s_addc_u32 s13, 0, s13                                     // 00000000A11C: 820D0D80
	v_mfma_i32_16x16x32_i8 v[216:219], a[78:79], v[146:147], v[216:219]// 00000000A120: D3D700D8 0F63254E
	v_mfma_i32_16x16x32_i8 v[220:223], a[76:77], v[176:177], v[220:223]// 00000000A128: D3D700DC 0F73614C
	v_mfma_i32_16x16x32_i8 v[220:223], a[78:79], v[178:179], v[220:223]// 00000000A130: D3D700DC 0F73654E
	s_waitcnt vmcnt(45)                                        // 00000000A138: BF8C8F7D
	v_mfma_i32_16x16x32_i8 v[192:195], a[80:81], v[148:149], v[192:195]// 00000000A13C: D3D700C0 0F032950
	buffer_load_dwordx4 a[208:211], v42, s[12:15], 0 offen     // 00000000A144: E05C1000 8083D02A
	v_mfma_i32_16x16x32_i8 v[192:195], a[82:83], v[150:151], v[192:195]// 00000000A14C: D3D700C0 0F032D52
	v_mfma_i32_16x16x32_i8 v[196:199], a[80:81], v[180:181], v[196:199]// 00000000A154: D3D700C4 0F136950
	v_mfma_i32_16x16x32_i8 v[196:199], a[82:83], v[182:183], v[196:199]// 00000000A15C: D3D700C4 0F136D52
	v_mfma_i32_16x16x32_i8 v[200:203], a[84:85], v[148:149], v[200:203]// 00000000A164: D3D700C8 0F232954
	buffer_load_dwordx4 a[212:215], v43, s[12:15], 0 offen     // 00000000A16C: E05C1000 8083D42B
	v_mfma_i32_16x16x32_i8 v[200:203], a[86:87], v[150:151], v[200:203]// 00000000A174: D3D700C8 0F232D56
	v_mfma_i32_16x16x32_i8 v[204:207], a[84:85], v[180:181], v[204:207]// 00000000A17C: D3D700CC 0F336954
	v_mfma_i32_16x16x32_i8 v[204:207], a[86:87], v[182:183], v[204:207]// 00000000A184: D3D700CC 0F336D56
	v_mfma_i32_16x16x32_i8 v[208:211], a[88:89], v[148:149], v[208:211]// 00000000A18C: D3D700D0 0F432958
	buffer_load_dwordx4 a[216:219], v44, s[12:15], 0 offen     // 00000000A194: E05C1000 8083D82C
	v_mfma_i32_16x16x32_i8 v[208:211], a[90:91], v[150:151], v[208:211]// 00000000A19C: D3D700D0 0F432D5A
	v_mfma_i32_16x16x32_i8 v[212:215], a[88:89], v[180:181], v[212:215]// 00000000A1A4: D3D700D4 0F536958
	v_mfma_i32_16x16x32_i8 v[212:215], a[90:91], v[182:183], v[212:215]// 00000000A1AC: D3D700D4 0F536D5A
	v_mfma_i32_16x16x32_i8 v[216:219], a[92:93], v[148:149], v[216:219]// 00000000A1B4: D3D700D8 0F63295C
	buffer_load_dwordx4 a[220:223], v45, s[12:15], 0 offen     // 00000000A1BC: E05C1000 8083DC2D
	s_add_u32 s12, s78, s12                                    // 00000000A1C4: 800C0C4E
	s_addc_u32 s13, 0, s13                                     // 00000000A1C8: 820D0D80
	v_mfma_i32_16x16x32_i8 v[216:219], a[94:95], v[150:151], v[216:219]// 00000000A1CC: D3D700D8 0F632D5E
	v_mfma_i32_16x16x32_i8 v[220:223], a[92:93], v[180:181], v[220:223]// 00000000A1D4: D3D700DC 0F73695C
	v_mfma_i32_16x16x32_i8 v[220:223], a[94:95], v[182:183], v[220:223]// 00000000A1DC: D3D700DC 0F736D5E
	s_waitcnt vmcnt(45)                                        // 00000000A1E4: BF8C8F7D
	v_mfma_i32_16x16x32_i8 v[192:195], a[96:97], v[152:153], v[192:195]// 00000000A1E8: D3D700C0 0F033160
	buffer_load_dwordx4 a[224:227], v42, s[12:15], 0 offen     // 00000000A1F0: E05C1000 8083E02A
	v_mfma_i32_16x16x32_i8 v[192:195], a[98:99], v[154:155], v[192:195]// 00000000A1F8: D3D700C0 0F033562
	v_mfma_i32_16x16x32_i8 v[196:199], a[96:97], v[184:185], v[196:199]// 00000000A200: D3D700C4 0F137160
	v_mfma_i32_16x16x32_i8 v[196:199], a[98:99], v[186:187], v[196:199]// 00000000A208: D3D700C4 0F137562
	v_mfma_i32_16x16x32_i8 v[200:203], a[100:101], v[152:153], v[200:203]// 00000000A210: D3D700C8 0F233164
	buffer_load_dwordx4 a[228:231], v43, s[12:15], 0 offen     // 00000000A218: E05C1000 8083E42B
	v_mfma_i32_16x16x32_i8 v[200:203], a[102:103], v[154:155], v[200:203]// 00000000A220: D3D700C8 0F233566
	v_mfma_i32_16x16x32_i8 v[204:207], a[100:101], v[184:185], v[204:207]// 00000000A228: D3D700CC 0F337164
	v_mfma_i32_16x16x32_i8 v[204:207], a[102:103], v[186:187], v[204:207]// 00000000A230: D3D700CC 0F337566
	v_mfma_i32_16x16x32_i8 v[208:211], a[104:105], v[152:153], v[208:211]// 00000000A238: D3D700D0 0F433168
	buffer_load_dwordx4 a[232:235], v44, s[12:15], 0 offen     // 00000000A240: E05C1000 8083E82C
	v_mfma_i32_16x16x32_i8 v[208:211], a[106:107], v[154:155], v[208:211]// 00000000A248: D3D700D0 0F43356A
	v_mfma_i32_16x16x32_i8 v[212:215], a[104:105], v[184:185], v[212:215]// 00000000A250: D3D700D4 0F537168
	v_mfma_i32_16x16x32_i8 v[212:215], a[106:107], v[186:187], v[212:215]// 00000000A258: D3D700D4 0F53756A
	v_mfma_i32_16x16x32_i8 v[216:219], a[108:109], v[152:153], v[216:219]// 00000000A260: D3D700D8 0F63316C
	buffer_load_dwordx4 a[236:239], v45, s[12:15], 0 offen     // 00000000A268: E05C1000 8083EC2D
	s_add_u32 s12, s78, s12                                    // 00000000A270: 800C0C4E
	s_addc_u32 s13, 0, s13                                     // 00000000A274: 820D0D80
	v_mfma_i32_16x16x32_i8 v[216:219], a[110:111], v[154:155], v[216:219]// 00000000A278: D3D700D8 0F63356E
	v_mfma_i32_16x16x32_i8 v[220:223], a[108:109], v[184:185], v[220:223]// 00000000A280: D3D700DC 0F73716C
	v_mfma_i32_16x16x32_i8 v[220:223], a[110:111], v[186:187], v[220:223]// 00000000A288: D3D700DC 0F73756E
	s_waitcnt vmcnt(44)                                        // 00000000A290: BF8C8F7C
	v_mfma_i32_16x16x32_i8 v[192:195], a[112:113], v[156:157], v[192:195]// 00000000A294: D3D700C0 0F033970
	buffer_load_dwordx4 a[240:243], v42, s[12:15], 0 offen     // 00000000A29C: E05C1000 8083F02A
	v_mfma_i32_16x16x32_i8 v[192:195], a[114:115], v[158:159], v[192:195]// 00000000A2A4: D3D700C0 0F033D72
	v_mfma_i32_16x16x32_i8 v[196:199], a[112:113], v[188:189], v[196:199]// 00000000A2AC: D3D700C4 0F137970
	buffer_load_dword v13, v5, s[16:19], 0 offen               // 00000000A2B4: E0501000 80040D05
	v_mfma_i32_16x16x32_i8 v[196:199], a[114:115], v[190:191], v[196:199]// 00000000A2BC: D3D700C4 0F137D72
	v_mfma_i32_16x16x32_i8 v[200:203], a[116:117], v[156:157], v[200:203]// 00000000A2C4: D3D700C8 0F233974
	buffer_load_dwordx4 a[244:247], v43, s[12:15], 0 offen     // 00000000A2CC: E05C1000 8083F42B
	v_mfma_i32_16x16x32_i8 v[200:203], a[118:119], v[158:159], v[200:203]// 00000000A2D4: D3D700C8 0F233D76
	v_mfma_i32_16x16x32_i8 v[204:207], a[116:117], v[188:189], v[204:207]// 00000000A2DC: D3D700CC 0F337974
	v_mfma_i32_16x16x32_i8 v[204:207], a[118:119], v[190:191], v[204:207]// 00000000A2E4: D3D700CC 0F337D76
	v_mfma_i32_16x16x32_i8 v[208:211], a[120:121], v[156:157], v[208:211]// 00000000A2EC: D3D700D0 0F433978
	buffer_load_dwordx4 a[248:251], v44, s[12:15], 0 offen     // 00000000A2F4: E05C1000 8083F82C
	v_mfma_i32_16x16x32_i8 v[208:211], a[122:123], v[158:159], v[208:211]// 00000000A2FC: D3D700D0 0F433D7A
	v_mfma_i32_16x16x32_i8 v[212:215], a[120:121], v[188:189], v[212:215]// 00000000A304: D3D700D4 0F537978
	v_mfma_i32_16x16x32_i8 v[212:215], a[122:123], v[190:191], v[212:215]// 00000000A30C: D3D700D4 0F537D7A
	v_mfma_i32_16x16x32_i8 v[216:219], a[124:125], v[156:157], v[216:219]// 00000000A314: D3D700D8 0F63397C
	buffer_load_dwordx4 a[252:255], v45, s[12:15], 0 offen     // 00000000A31C: E05C1000 8083FC2D
	v_mfma_i32_16x16x32_i8 v[216:219], a[126:127], v[158:159], v[216:219]// 00000000A324: D3D700D8 0F633D7E
	v_mfma_i32_16x16x32_i8 v[220:223], a[124:125], v[188:189], v[220:223]// 00000000A32C: D3D700DC 0F73797C
	v_mfma_i32_16x16x32_i8 v[220:223], a[126:127], v[190:191], v[220:223]// 00000000A334: D3D700DC 0F737D7E
	s_add_u32 s60, 0x200, s80                                  // 00000000A33C: 803C50FF 00000200
	s_cmp_lt_u32 s60, s81                                      // 00000000A344: BF0A513C
	s_cselect_b32 s56, s56, 0                                  // 00000000A348: 85388038
	s_cselect_b32 s78, s78, 0                                  // 00000000A34C: 854E804E
	s_cselect_b32 s79, s79, 0                                  // 00000000A350: 854F804F
	s_add_u32 s12, s56, s12                                    // 00000000A354: 800C0C38
	s_addc_u32 s13, 0, s13                                     // 00000000A358: 820D0D80
	s_add_u32 s16, s79, s16                                    // 00000000A35C: 8010104F
	s_addc_u32 s17, 0, s17                                     // 00000000A360: 82111180
	v_cvt_f32_i32_e32 v192, v192                               // 00000000A364: 7F800BC0
	v_cvt_f32_i32_e32 v193, v193                               // 00000000A368: 7F820BC1
	v_cvt_f32_i32_e32 v194, v194                               // 00000000A36C: 7F840BC2
	v_cvt_f32_i32_e32 v195, v195                               // 00000000A370: 7F860BC3
	v_mul_f32_e32 v192, v24, v192                              // 00000000A374: 0B818118
	v_mul_f32_e32 v193, v24, v193                              // 00000000A378: 0B838318
	v_mul_f32_e32 v194, v24, v194                              // 00000000A37C: 0B858518
	v_mul_f32_e32 v195, v24, v195                              // 00000000A380: 0B878718
	v_mul_f32_dpp v192, v12, v192 row_newbcast:0 row_mask:0xf bank_mask:0xf// 00000000A384: 0B8180FA FF01500C
	v_mul_f32_dpp v193, v12, v193 row_newbcast:1 row_mask:0xf bank_mask:0xf// 00000000A38C: 0B8382FA FF01510C
	v_mul_f32_dpp v194, v12, v194 row_newbcast:2 row_mask:0xf bank_mask:0xf// 00000000A394: 0B8584FA FF01520C
	v_mul_f32_dpp v195, v12, v195 row_newbcast:3 row_mask:0xf bank_mask:0xf// 00000000A39C: 0B8786FA FF01530C
	v_mul_f32_e32 v192, v20, v192                              // 00000000A3A4: 0B818114
	v_mul_f32_e32 v193, v20, v193                              // 00000000A3A8: 0B838314
	v_mul_f32_e32 v194, v20, v194                              // 00000000A3AC: 0B858514
	v_mul_f32_e32 v195, v20, v195                              // 00000000A3B0: 0B878714
	v_cvt_f32_i32_e32 v196, v196                               // 00000000A3B4: 7F880BC4
	v_cvt_f32_i32_e32 v197, v197                               // 00000000A3B8: 7F8A0BC5
	v_cvt_f32_i32_e32 v198, v198                               // 00000000A3BC: 7F8C0BC6
	v_cvt_f32_i32_e32 v199, v199                               // 00000000A3C0: 7F8E0BC7
	v_mul_f32_e32 v196, v25, v196                              // 00000000A3C4: 0B898919
	v_mul_f32_e32 v197, v25, v197                              // 00000000A3C8: 0B8B8B19
	v_mul_f32_e32 v198, v25, v198                              // 00000000A3CC: 0B8D8D19
	v_mul_f32_e32 v199, v25, v199                              // 00000000A3D0: 0B8F8F19
	v_mul_f32_dpp v196, v12, v196 row_newbcast:0 row_mask:0xf bank_mask:0xf// 00000000A3D4: 0B8988FA FF01500C
	v_mul_f32_dpp v197, v12, v197 row_newbcast:1 row_mask:0xf bank_mask:0xf// 00000000A3DC: 0B8B8AFA FF01510C
	v_mul_f32_dpp v198, v12, v198 row_newbcast:2 row_mask:0xf bank_mask:0xf// 00000000A3E4: 0B8D8CFA FF01520C
	v_mul_f32_dpp v199, v12, v199 row_newbcast:3 row_mask:0xf bank_mask:0xf// 00000000A3EC: 0B8F8EFA FF01530C
	v_mul_f32_e32 v196, v21, v196                              // 00000000A3F4: 0B898915
	v_mul_f32_e32 v197, v21, v197                              // 00000000A3F8: 0B8B8B15
	v_mul_f32_e32 v198, v21, v198                              // 00000000A3FC: 0B8D8D15
	v_mul_f32_e32 v199, v21, v199                              // 00000000A400: 0B8F8F15
	v_cvt_f32_i32_e32 v200, v200                               // 00000000A404: 7F900BC8
	v_cvt_f32_i32_e32 v201, v201                               // 00000000A408: 7F920BC9
	v_cvt_f32_i32_e32 v202, v202                               // 00000000A40C: 7F940BCA
	v_cvt_f32_i32_e32 v203, v203                               // 00000000A410: 7F960BCB
	v_mul_f32_e32 v200, v24, v200                              // 00000000A414: 0B919118
	v_mul_f32_e32 v201, v24, v201                              // 00000000A418: 0B939318
	v_mul_f32_e32 v202, v24, v202                              // 00000000A41C: 0B959518
	v_mul_f32_e32 v203, v24, v203                              // 00000000A420: 0B979718
	v_mul_f32_dpp v200, v12, v200 row_newbcast:4 row_mask:0xf bank_mask:0xf// 00000000A424: 0B9190FA FF01540C
	v_mul_f32_dpp v201, v12, v201 row_newbcast:5 row_mask:0xf bank_mask:0xf// 00000000A42C: 0B9392FA FF01550C
	v_mul_f32_dpp v202, v12, v202 row_newbcast:6 row_mask:0xf bank_mask:0xf// 00000000A434: 0B9594FA FF01560C
	v_mul_f32_dpp v203, v12, v203 row_newbcast:7 row_mask:0xf bank_mask:0xf// 00000000A43C: 0B9796FA FF01570C
	v_mul_f32_e32 v200, v20, v200                              // 00000000A444: 0B919114
	v_mul_f32_e32 v201, v20, v201                              // 00000000A448: 0B939314
	v_mul_f32_e32 v202, v20, v202                              // 00000000A44C: 0B959514
	v_mul_f32_e32 v203, v20, v203                              // 00000000A450: 0B979714
	v_cvt_f32_i32_e32 v204, v204                               // 00000000A454: 7F980BCC
	v_cvt_f32_i32_e32 v205, v205                               // 00000000A458: 7F9A0BCD
	v_cvt_f32_i32_e32 v206, v206                               // 00000000A45C: 7F9C0BCE
	v_cvt_f32_i32_e32 v207, v207                               // 00000000A460: 7F9E0BCF
	v_mul_f32_e32 v204, v25, v204                              // 00000000A464: 0B999919
	v_mul_f32_e32 v205, v25, v205                              // 00000000A468: 0B9B9B19
	v_mul_f32_e32 v206, v25, v206                              // 00000000A46C: 0B9D9D19
	v_mul_f32_e32 v207, v25, v207                              // 00000000A470: 0B9F9F19
	v_mul_f32_dpp v204, v12, v204 row_newbcast:4 row_mask:0xf bank_mask:0xf// 00000000A474: 0B9998FA FF01540C
	v_mul_f32_dpp v205, v12, v205 row_newbcast:5 row_mask:0xf bank_mask:0xf// 00000000A47C: 0B9B9AFA FF01550C
	v_mul_f32_dpp v206, v12, v206 row_newbcast:6 row_mask:0xf bank_mask:0xf// 00000000A484: 0B9D9CFA FF01560C
	v_mul_f32_dpp v207, v12, v207 row_newbcast:7 row_mask:0xf bank_mask:0xf// 00000000A48C: 0B9F9EFA FF01570C
	v_mul_f32_e32 v204, v21, v204                              // 00000000A494: 0B999915
	v_mul_f32_e32 v205, v21, v205                              // 00000000A498: 0B9B9B15
	v_mul_f32_e32 v206, v21, v206                              // 00000000A49C: 0B9D9D15
	v_mul_f32_e32 v207, v21, v207                              // 00000000A4A0: 0B9F9F15
	v_cvt_f32_i32_e32 v208, v208                               // 00000000A4A4: 7FA00BD0
	v_cvt_f32_i32_e32 v209, v209                               // 00000000A4A8: 7FA20BD1
	v_cvt_f32_i32_e32 v210, v210                               // 00000000A4AC: 7FA40BD2
	v_cvt_f32_i32_e32 v211, v211                               // 00000000A4B0: 7FA60BD3
	v_mul_f32_e32 v208, v24, v208                              // 00000000A4B4: 0BA1A118
	v_mul_f32_e32 v209, v24, v209                              // 00000000A4B8: 0BA3A318
	v_mul_f32_e32 v210, v24, v210                              // 00000000A4BC: 0BA5A518
	v_mul_f32_e32 v211, v24, v211                              // 00000000A4C0: 0BA7A718
	v_mul_f32_dpp v208, v12, v208 row_newbcast:8 row_mask:0xf bank_mask:0xf// 00000000A4C4: 0BA1A0FA FF01580C
	v_mul_f32_dpp v209, v12, v209 row_newbcast:9 row_mask:0xf bank_mask:0xf// 00000000A4CC: 0BA3A2FA FF01590C
	v_mul_f32_dpp v210, v12, v210 row_newbcast:10 row_mask:0xf bank_mask:0xf// 00000000A4D4: 0BA5A4FA FF015A0C
	v_mul_f32_dpp v211, v12, v211 row_newbcast:11 row_mask:0xf bank_mask:0xf// 00000000A4DC: 0BA7A6FA FF015B0C
	v_mul_f32_e32 v208, v20, v208                              // 00000000A4E4: 0BA1A114
	v_mul_f32_e32 v209, v20, v209                              // 00000000A4E8: 0BA3A314
	v_mul_f32_e32 v210, v20, v210                              // 00000000A4EC: 0BA5A514
	v_mul_f32_e32 v211, v20, v211                              // 00000000A4F0: 0BA7A714
	v_cvt_f32_i32_e32 v212, v212                               // 00000000A4F4: 7FA80BD4
	v_cvt_f32_i32_e32 v213, v213                               // 00000000A4F8: 7FAA0BD5
	v_cvt_f32_i32_e32 v214, v214                               // 00000000A4FC: 7FAC0BD6
	v_cvt_f32_i32_e32 v215, v215                               // 00000000A500: 7FAE0BD7
	v_mul_f32_e32 v212, v25, v212                              // 00000000A504: 0BA9A919
	v_mul_f32_e32 v213, v25, v213                              // 00000000A508: 0BABAB19
	v_mul_f32_e32 v214, v25, v214                              // 00000000A50C: 0BADAD19
	v_mul_f32_e32 v215, v25, v215                              // 00000000A510: 0BAFAF19
	v_mul_f32_dpp v212, v12, v212 row_newbcast:8 row_mask:0xf bank_mask:0xf// 00000000A514: 0BA9A8FA FF01580C
	v_mul_f32_dpp v213, v12, v213 row_newbcast:9 row_mask:0xf bank_mask:0xf// 00000000A51C: 0BABAAFA FF01590C
	v_mul_f32_dpp v214, v12, v214 row_newbcast:10 row_mask:0xf bank_mask:0xf// 00000000A524: 0BADACFA FF015A0C
	v_mul_f32_dpp v215, v12, v215 row_newbcast:11 row_mask:0xf bank_mask:0xf// 00000000A52C: 0BAFAEFA FF015B0C
	v_mul_f32_e32 v212, v21, v212                              // 00000000A534: 0BA9A915
	v_mul_f32_e32 v213, v21, v213                              // 00000000A538: 0BABAB15
	v_mul_f32_e32 v214, v21, v214                              // 00000000A53C: 0BADAD15
	v_mul_f32_e32 v215, v21, v215                              // 00000000A540: 0BAFAF15
	v_cvt_f32_i32_e32 v216, v216                               // 00000000A544: 7FB00BD8
	v_cvt_f32_i32_e32 v217, v217                               // 00000000A548: 7FB20BD9
	v_cvt_f32_i32_e32 v218, v218                               // 00000000A54C: 7FB40BDA
	v_cvt_f32_i32_e32 v219, v219                               // 00000000A550: 7FB60BDB
	v_mul_f32_e32 v216, v24, v216                              // 00000000A554: 0BB1B118
	v_mul_f32_e32 v217, v24, v217                              // 00000000A558: 0BB3B318
	v_mul_f32_e32 v218, v24, v218                              // 00000000A55C: 0BB5B518
	v_mul_f32_e32 v219, v24, v219                              // 00000000A560: 0BB7B718
	v_mul_f32_dpp v216, v12, v216 row_newbcast:12 row_mask:0xf bank_mask:0xf// 00000000A564: 0BB1B0FA FF015C0C
	v_mul_f32_dpp v217, v12, v217 row_newbcast:13 row_mask:0xf bank_mask:0xf// 00000000A56C: 0BB3B2FA FF015D0C
	v_mul_f32_dpp v218, v12, v218 row_newbcast:14 row_mask:0xf bank_mask:0xf// 00000000A574: 0BB5B4FA FF015E0C
	v_mul_f32_dpp v219, v12, v219 row_newbcast:15 row_mask:0xf bank_mask:0xf// 00000000A57C: 0BB7B6FA FF015F0C
	v_mul_f32_e32 v216, v20, v216                              // 00000000A584: 0BB1B114
	v_mul_f32_e32 v217, v20, v217                              // 00000000A588: 0BB3B314
	v_mul_f32_e32 v218, v20, v218                              // 00000000A58C: 0BB5B514
	v_mul_f32_e32 v219, v20, v219                              // 00000000A590: 0BB7B714
	v_cvt_f32_i32_e32 v220, v220                               // 00000000A594: 7FB80BDC
	v_cvt_f32_i32_e32 v221, v221                               // 00000000A598: 7FBA0BDD
	v_cvt_f32_i32_e32 v222, v222                               // 00000000A59C: 7FBC0BDE
	v_cvt_f32_i32_e32 v223, v223                               // 00000000A5A0: 7FBE0BDF
	v_mul_f32_e32 v220, v25, v220                              // 00000000A5A4: 0BB9B919
	v_mul_f32_e32 v221, v25, v221                              // 00000000A5A8: 0BBBBB19
	v_mul_f32_e32 v222, v25, v222                              // 00000000A5AC: 0BBDBD19
	v_mul_f32_e32 v223, v25, v223                              // 00000000A5B0: 0BBFBF19
	v_mul_f32_dpp v220, v12, v220 row_newbcast:12 row_mask:0xf bank_mask:0xf// 00000000A5B4: 0BB9B8FA FF015C0C
	v_mul_f32_dpp v221, v12, v221 row_newbcast:13 row_mask:0xf bank_mask:0xf// 00000000A5BC: 0BBBBAFA FF015D0C
	v_mul_f32_dpp v222, v12, v222 row_newbcast:14 row_mask:0xf bank_mask:0xf// 00000000A5C4: 0BBDBCFA FF015E0C
	v_mul_f32_dpp v223, v12, v223 row_newbcast:15 row_mask:0xf bank_mask:0xf// 00000000A5CC: 0BBFBEFA FF015F0C
	v_mul_f32_e32 v220, v21, v220                              // 00000000A5D4: 0BB9B915
	v_mul_f32_e32 v221, v21, v221                              // 00000000A5D8: 0BBBBB15
	v_mul_f32_e32 v222, v21, v222                              // 00000000A5DC: 0BBDBD15
	v_mul_f32_e32 v223, v21, v223                              // 00000000A5E0: 0BBFBF15
	v_cmp_u_f32_e64 s[48:49], v192, v192                       // 00000000A5E4: D0480030 000381C0
	v_add3_u32 v46, v192, v49, 1                               // 00000000A5EC: D1FF002E 020663C0
	v_cndmask_b32_e64 v50, v46, v48, s[48:49]                  // 00000000A5F4: D1000032 00C2612E
	v_cmp_u_f32_e64 s[48:49], v193, v193                       // 00000000A5FC: D0480030 000383C1
	v_add3_u32 v46, v193, v49, 1                               // 00000000A604: D1FF002E 020663C1
	v_cndmask_b32_e64 v51, v46, v48, s[48:49]                  // 00000000A60C: D1000033 00C2612E
	v_perm_b32 v192, v51, v50, s52                             // 00000000A614: D1ED00C0 00D26533
	v_cmp_u_f32_e64 s[48:49], v194, v194                       // 00000000A61C: D0480030 000385C2
	v_add3_u32 v46, v194, v49, 1                               // 00000000A624: D1FF002E 020663C2
	v_cndmask_b32_e64 v50, v46, v48, s[48:49]                  // 00000000A62C: D1000032 00C2612E
	v_cmp_u_f32_e64 s[48:49], v195, v195                       // 00000000A634: D0480030 000387C3
	v_add3_u32 v46, v195, v49, 1                               // 00000000A63C: D1FF002E 020663C3
	v_cndmask_b32_e64 v51, v46, v48, s[48:49]                  // 00000000A644: D1000033 00C2612E
	v_perm_b32 v193, v51, v50, s52                             // 00000000A64C: D1ED00C1 00D26533
	v_cmp_u_f32_e64 s[48:49], v196, v196                       // 00000000A654: D0480030 000389C4
	v_add3_u32 v46, v196, v49, 1                               // 00000000A65C: D1FF002E 020663C4
	v_cndmask_b32_e64 v50, v46, v48, s[48:49]                  // 00000000A664: D1000032 00C2612E
	v_cmp_u_f32_e64 s[48:49], v197, v197                       // 00000000A66C: D0480030 00038BC5
	v_add3_u32 v46, v197, v49, 1                               // 00000000A674: D1FF002E 020663C5
	v_cndmask_b32_e64 v51, v46, v48, s[48:49]                  // 00000000A67C: D1000033 00C2612E
	v_perm_b32 v194, v51, v50, s52                             // 00000000A684: D1ED00C2 00D26533
	v_cmp_u_f32_e64 s[48:49], v198, v198                       // 00000000A68C: D0480030 00038DC6
	v_add3_u32 v46, v198, v49, 1                               // 00000000A694: D1FF002E 020663C6
	v_cndmask_b32_e64 v50, v46, v48, s[48:49]                  // 00000000A69C: D1000032 00C2612E
	v_cmp_u_f32_e64 s[48:49], v199, v199                       // 00000000A6A4: D0480030 00038FC7
	v_add3_u32 v46, v199, v49, 1                               // 00000000A6AC: D1FF002E 020663C7
	v_cndmask_b32_e64 v51, v46, v48, s[48:49]                  // 00000000A6B4: D1000033 00C2612E
	v_perm_b32 v195, v51, v50, s52                             // 00000000A6BC: D1ED00C3 00D26533
	v_cmp_u_f32_e64 s[48:49], v200, v200                       // 00000000A6C4: D0480030 000391C8
	v_add3_u32 v46, v200, v49, 1                               // 00000000A6CC: D1FF002E 020663C8
	v_cndmask_b32_e64 v50, v46, v48, s[48:49]                  // 00000000A6D4: D1000032 00C2612E
	v_cmp_u_f32_e64 s[48:49], v201, v201                       // 00000000A6DC: D0480030 000393C9
	v_add3_u32 v46, v201, v49, 1                               // 00000000A6E4: D1FF002E 020663C9
	v_cndmask_b32_e64 v51, v46, v48, s[48:49]                  // 00000000A6EC: D1000033 00C2612E
	v_perm_b32 v196, v51, v50, s52                             // 00000000A6F4: D1ED00C4 00D26533
	v_cmp_u_f32_e64 s[48:49], v202, v202                       // 00000000A6FC: D0480030 000395CA
	v_add3_u32 v46, v202, v49, 1                               // 00000000A704: D1FF002E 020663CA
	v_cndmask_b32_e64 v50, v46, v48, s[48:49]                  // 00000000A70C: D1000032 00C2612E
	v_cmp_u_f32_e64 s[48:49], v203, v203                       // 00000000A714: D0480030 000397CB
	v_add3_u32 v46, v203, v49, 1                               // 00000000A71C: D1FF002E 020663CB
	v_cndmask_b32_e64 v51, v46, v48, s[48:49]                  // 00000000A724: D1000033 00C2612E
	v_perm_b32 v197, v51, v50, s52                             // 00000000A72C: D1ED00C5 00D26533
	v_cmp_u_f32_e64 s[48:49], v204, v204                       // 00000000A734: D0480030 000399CC
	v_add3_u32 v46, v204, v49, 1                               // 00000000A73C: D1FF002E 020663CC
	v_cndmask_b32_e64 v50, v46, v48, s[48:49]                  // 00000000A744: D1000032 00C2612E
	v_cmp_u_f32_e64 s[48:49], v205, v205                       // 00000000A74C: D0480030 00039BCD
	v_add3_u32 v46, v205, v49, 1                               // 00000000A754: D1FF002E 020663CD
	v_cndmask_b32_e64 v51, v46, v48, s[48:49]                  // 00000000A75C: D1000033 00C2612E
	v_perm_b32 v198, v51, v50, s52                             // 00000000A764: D1ED00C6 00D26533
	v_cmp_u_f32_e64 s[48:49], v206, v206                       // 00000000A76C: D0480030 00039DCE
	v_add3_u32 v46, v206, v49, 1                               // 00000000A774: D1FF002E 020663CE
	v_cndmask_b32_e64 v50, v46, v48, s[48:49]                  // 00000000A77C: D1000032 00C2612E
	v_cmp_u_f32_e64 s[48:49], v207, v207                       // 00000000A784: D0480030 00039FCF
	v_add3_u32 v46, v207, v49, 1                               // 00000000A78C: D1FF002E 020663CF
	v_cndmask_b32_e64 v51, v46, v48, s[48:49]                  // 00000000A794: D1000033 00C2612E
	v_perm_b32 v199, v51, v50, s52                             // 00000000A79C: D1ED00C7 00D26533
	v_cmp_u_f32_e64 s[48:49], v208, v208                       // 00000000A7A4: D0480030 0003A1D0
	v_add3_u32 v46, v208, v49, 1                               // 00000000A7AC: D1FF002E 020663D0
	v_cndmask_b32_e64 v50, v46, v48, s[48:49]                  // 00000000A7B4: D1000032 00C2612E
	v_cmp_u_f32_e64 s[48:49], v209, v209                       // 00000000A7BC: D0480030 0003A3D1
	v_add3_u32 v46, v209, v49, 1                               // 00000000A7C4: D1FF002E 020663D1
	v_cndmask_b32_e64 v51, v46, v48, s[48:49]                  // 00000000A7CC: D1000033 00C2612E
	v_perm_b32 v200, v51, v50, s52                             // 00000000A7D4: D1ED00C8 00D26533
	v_cmp_u_f32_e64 s[48:49], v210, v210                       // 00000000A7DC: D0480030 0003A5D2
	v_add3_u32 v46, v210, v49, 1                               // 00000000A7E4: D1FF002E 020663D2
	v_cndmask_b32_e64 v50, v46, v48, s[48:49]                  // 00000000A7EC: D1000032 00C2612E
	v_cmp_u_f32_e64 s[48:49], v211, v211                       // 00000000A7F4: D0480030 0003A7D3
	v_add3_u32 v46, v211, v49, 1                               // 00000000A7FC: D1FF002E 020663D3
	v_cndmask_b32_e64 v51, v46, v48, s[48:49]                  // 00000000A804: D1000033 00C2612E
	v_perm_b32 v201, v51, v50, s52                             // 00000000A80C: D1ED00C9 00D26533
	v_cmp_u_f32_e64 s[48:49], v212, v212                       // 00000000A814: D0480030 0003A9D4
	v_add3_u32 v46, v212, v49, 1                               // 00000000A81C: D1FF002E 020663D4
	v_cndmask_b32_e64 v50, v46, v48, s[48:49]                  // 00000000A824: D1000032 00C2612E
	v_cmp_u_f32_e64 s[48:49], v213, v213                       // 00000000A82C: D0480030 0003ABD5
	v_add3_u32 v46, v213, v49, 1                               // 00000000A834: D1FF002E 020663D5
	v_cndmask_b32_e64 v51, v46, v48, s[48:49]                  // 00000000A83C: D1000033 00C2612E
	v_perm_b32 v202, v51, v50, s52                             // 00000000A844: D1ED00CA 00D26533
	v_cmp_u_f32_e64 s[48:49], v214, v214                       // 00000000A84C: D0480030 0003ADD6
	v_add3_u32 v46, v214, v49, 1                               // 00000000A854: D1FF002E 020663D6
	v_cndmask_b32_e64 v50, v46, v48, s[48:49]                  // 00000000A85C: D1000032 00C2612E
	v_cmp_u_f32_e64 s[48:49], v215, v215                       // 00000000A864: D0480030 0003AFD7
	v_add3_u32 v46, v215, v49, 1                               // 00000000A86C: D1FF002E 020663D7
	v_cndmask_b32_e64 v51, v46, v48, s[48:49]                  // 00000000A874: D1000033 00C2612E
	v_perm_b32 v203, v51, v50, s52                             // 00000000A87C: D1ED00CB 00D26533
	v_cmp_u_f32_e64 s[48:49], v216, v216                       // 00000000A884: D0480030 0003B1D8
	v_add3_u32 v46, v216, v49, 1                               // 00000000A88C: D1FF002E 020663D8
	v_cndmask_b32_e64 v50, v46, v48, s[48:49]                  // 00000000A894: D1000032 00C2612E
	v_cmp_u_f32_e64 s[48:49], v217, v217                       // 00000000A89C: D0480030 0003B3D9
	v_add3_u32 v46, v217, v49, 1                               // 00000000A8A4: D1FF002E 020663D9
	v_cndmask_b32_e64 v51, v46, v48, s[48:49]                  // 00000000A8AC: D1000033 00C2612E
	v_perm_b32 v204, v51, v50, s52                             // 00000000A8B4: D1ED00CC 00D26533
	v_cmp_u_f32_e64 s[48:49], v218, v218                       // 00000000A8BC: D0480030 0003B5DA
	v_add3_u32 v46, v218, v49, 1                               // 00000000A8C4: D1FF002E 020663DA
	v_cndmask_b32_e64 v50, v46, v48, s[48:49]                  // 00000000A8CC: D1000032 00C2612E
	v_cmp_u_f32_e64 s[48:49], v219, v219                       // 00000000A8D4: D0480030 0003B7DB
	v_add3_u32 v46, v219, v49, 1                               // 00000000A8DC: D1FF002E 020663DB
	v_cndmask_b32_e64 v51, v46, v48, s[48:49]                  // 00000000A8E4: D1000033 00C2612E
	v_perm_b32 v205, v51, v50, s52                             // 00000000A8EC: D1ED00CD 00D26533
	v_cmp_u_f32_e64 s[48:49], v220, v220                       // 00000000A8F4: D0480030 0003B9DC
	v_add3_u32 v46, v220, v49, 1                               // 00000000A8FC: D1FF002E 020663DC
	v_cndmask_b32_e64 v50, v46, v48, s[48:49]                  // 00000000A904: D1000032 00C2612E
	v_cmp_u_f32_e64 s[48:49], v221, v221                       // 00000000A90C: D0480030 0003BBDD
	v_add3_u32 v46, v221, v49, 1                               // 00000000A914: D1FF002E 020663DD
	v_cndmask_b32_e64 v51, v46, v48, s[48:49]                  // 00000000A91C: D1000033 00C2612E
	v_perm_b32 v206, v51, v50, s52                             // 00000000A924: D1ED00CE 00D26533
	v_cmp_u_f32_e64 s[48:49], v222, v222                       // 00000000A92C: D0480030 0003BDDE
	v_add3_u32 v46, v222, v49, 1                               // 00000000A934: D1FF002E 020663DE
	v_cndmask_b32_e64 v50, v46, v48, s[48:49]                  // 00000000A93C: D1000032 00C2612E
	v_cmp_u_f32_e64 s[48:49], v223, v223                       // 00000000A944: D0480030 0003BFDF
	v_add3_u32 v46, v223, v49, 1                               // 00000000A94C: D1FF002E 020663DF
	v_cndmask_b32_e64 v51, v46, v48, s[48:49]                  // 00000000A954: D1000033 00C2612E
	v_perm_b32 v207, v51, v50, s52                             // 00000000A95C: D1ED00CF 00D26533
	ds_write_b64 v3, v[192:193] offset:35072                   // 00000000A964: D89A8900 0000C003
	ds_write_b64 v3, v[194:195] offset:43776                   // 00000000A96C: D89AAB00 0000C203
	ds_write_b64 v3, v[196:197] offset:37248                   // 00000000A974: D89A9180 0000C403
	ds_write_b64 v3, v[198:199] offset:45952                   // 00000000A97C: D89AB380 0000C603
	ds_write_b64 v3, v[200:201] offset:39424                   // 00000000A984: D89A9A00 0000C803
	ds_write_b64 v3, v[202:203] offset:48128                   // 00000000A98C: D89ABC00 0000CA03
	ds_write_b64 v3, v[204:205] offset:41600                   // 00000000A994: D89AA280 0000CC03
	ds_write_b64 v3, v[206:207] offset:50304                   // 00000000A99C: D89AC480 0000CE03
	s_waitcnt lgkmcnt(0)                                       // 00000000A9A4: BF8CC07F
	s_barrier                                                  // 00000000A9A8: BF8A0000
	ds_read_b32 v64, v4 offset:35072                           // 00000000A9AC: D86C8900 40000004
	ds_read_b32 v65, v4 offset:39424                           // 00000000A9B4: D86C9A00 41000004
	ds_read_b32 v66, v4 offset:35104                           // 00000000A9BC: D86C8920 42000004
	ds_read_b32 v67, v4 offset:39456                           // 00000000A9C4: D86C9A20 43000004
	ds_read_b32 v68, v4 offset:35136                           // 00000000A9CC: D86C8940 44000004
	ds_read_b32 v69, v4 offset:39488                           // 00000000A9D4: D86C9A40 45000004
	ds_read_b32 v70, v4 offset:35168                           // 00000000A9DC: D86C8960 46000004
	ds_read_b32 v71, v4 offset:39520                           // 00000000A9E4: D86C9A60 47000004
	ds_read_b32 v72, v4 offset:43776                           // 00000000A9EC: D86CAB00 48000004
	ds_read_b32 v73, v4 offset:48128                           // 00000000A9F4: D86CBC00 49000004
	ds_read_b32 v74, v4 offset:43808                           // 00000000A9FC: D86CAB20 4A000004
	ds_read_b32 v75, v4 offset:48160                           // 00000000AA04: D86CBC20 4B000004
	ds_read_b32 v76, v4 offset:43840                           // 00000000AA0C: D86CAB40 4C000004
	ds_read_b32 v77, v4 offset:48192                           // 00000000AA14: D86CBC40 4D000004
	ds_read_b32 v78, v4 offset:43872                           // 00000000AA1C: D86CAB60 4E000004
	ds_read_b32 v79, v4 offset:48224                           // 00000000AA24: D86CBC60 4F000004
	s_waitcnt lgkmcnt(0)                                       // 00000000AA2C: BF8CC07F
	s_mov_b64 exec, s[20:21]                                   // 00000000AA30: BEFE0114
	global_atomic_pk_add_bf16 v80, v64, s[8:9]                 // 00000000AA34: DD488000 00084050
	s_mov_b64 exec, s[36:37]                                   // 00000000AA3C: BEFE0124
	s_mov_b64 exec, s[20:21]                                   // 00000000AA40: BEFE0114
	global_atomic_pk_add_bf16 v80, v65, s[8:9] offset:256      // 00000000AA44: DD488100 00084150
	s_mov_b64 exec, s[36:37]                                   // 00000000AA4C: BEFE0124
	s_mov_b64 exec, s[22:23]                                   // 00000000AA50: BEFE0116
	global_atomic_pk_add_bf16 v82, v66, s[8:9]                 // 00000000AA54: DD488000 00084252
	s_mov_b64 exec, s[36:37]                                   // 00000000AA5C: BEFE0124
	s_mov_b64 exec, s[22:23]                                   // 00000000AA60: BEFE0116
	global_atomic_pk_add_bf16 v82, v67, s[8:9] offset:256      // 00000000AA64: DD488100 00084352
	s_mov_b64 exec, s[36:37]                                   // 00000000AA6C: BEFE0124
	s_mov_b64 exec, s[24:25]                                   // 00000000AA70: BEFE0118
	global_atomic_pk_add_bf16 v84, v68, s[8:9]                 // 00000000AA74: DD488000 00084454
	s_mov_b64 exec, s[36:37]                                   // 00000000AA7C: BEFE0124
	s_mov_b64 exec, s[24:25]                                   // 00000000AA80: BEFE0118
	global_atomic_pk_add_bf16 v84, v69, s[8:9] offset:256      // 00000000AA84: DD488100 00084554
	s_mov_b64 exec, s[36:37]                                   // 00000000AA8C: BEFE0124
	s_mov_b64 exec, s[26:27]                                   // 00000000AA90: BEFE011A
	global_atomic_pk_add_bf16 v86, v70, s[8:9]                 // 00000000AA94: DD488000 00084656
	s_mov_b64 exec, s[36:37]                                   // 00000000AA9C: BEFE0124
	s_mov_b64 exec, s[26:27]                                   // 00000000AAA0: BEFE011A
	global_atomic_pk_add_bf16 v86, v71, s[8:9] offset:256      // 00000000AAA4: DD488100 00084756
	s_mov_b64 exec, s[36:37]                                   // 00000000AAAC: BEFE0124
	s_mov_b64 exec, s[28:29]                                   // 00000000AAB0: BEFE011C
	global_atomic_pk_add_bf16 v88, v72, s[8:9]                 // 00000000AAB4: DD488000 00084858
	s_mov_b64 exec, s[36:37]                                   // 00000000AABC: BEFE0124
	s_mov_b64 exec, s[28:29]                                   // 00000000AAC0: BEFE011C
	global_atomic_pk_add_bf16 v88, v73, s[8:9] offset:256      // 00000000AAC4: DD488100 00084958
	s_mov_b64 exec, s[36:37]                                   // 00000000AACC: BEFE0124
	s_mov_b64 exec, s[30:31]                                   // 00000000AAD0: BEFE011E
	global_atomic_pk_add_bf16 v90, v74, s[8:9]                 // 00000000AAD4: DD488000 00084A5A
	s_mov_b64 exec, s[36:37]                                   // 00000000AADC: BEFE0124
	s_mov_b64 exec, s[30:31]                                   // 00000000AAE0: BEFE011E
	global_atomic_pk_add_bf16 v90, v75, s[8:9] offset:256      // 00000000AAE4: DD488100 00084B5A
	s_mov_b64 exec, s[36:37]                                   // 00000000AAEC: BEFE0124
	s_mov_b64 exec, s[32:33]                                   // 00000000AAF0: BEFE0120
	global_atomic_pk_add_bf16 v92, v76, s[8:9]                 // 00000000AAF4: DD488000 00084C5C
	s_mov_b64 exec, s[36:37]                                   // 00000000AAFC: BEFE0124
	s_mov_b64 exec, s[32:33]                                   // 00000000AB00: BEFE0120
	global_atomic_pk_add_bf16 v92, v77, s[8:9] offset:256      // 00000000AB04: DD488100 00084D5C
	s_mov_b64 exec, s[36:37]                                   // 00000000AB0C: BEFE0124
	s_mov_b64 exec, s[34:35]                                   // 00000000AB10: BEFE0122
	global_atomic_pk_add_bf16 v94, v78, s[8:9]                 // 00000000AB14: DD488000 00084E5E
	s_mov_b64 exec, s[36:37]                                   // 00000000AB1C: BEFE0124
	s_mov_b64 exec, s[34:35]                                   // 00000000AB20: BEFE0122
	global_atomic_pk_add_bf16 v94, v79, s[8:9] offset:256      // 00000000AB24: DD488100 00084F5E
	s_mov_b64 exec, s[36:37]                                   // 00000000AB2C: BEFE0124
	s_add_u32 s8, s59, s8                                      // 00000000AB30: 8008083B
	s_addc_u32 s9, 0, s9                                       // 00000000AB34: 82090980
	s_addk_i32 s80, 0x100                                      // 00000000AB38: B7500100
	s_cmp_lt_i32 s80, s81                                      // 00000000AB3C: BF045150
	s_cbranch_scc0 label_1309                                  // 00000000AB40: BF84F2F8
	s_waitcnt vmcnt(45)                                        // 00000000AB44: BF8C8F7D
	s_barrier                                                  // 00000000AB48: BF8A0000
	v_mfma_i32_16x16x32_i8 v[224:227], a[128:129], v[128:129], 0// 00000000AB4C: D3D700E0 0A030180
	buffer_load_dwordx4 a[0:3], v42, s[12:15], 0 offen         // 00000000AB54: E05C1000 8083002A
	v_mfma_i32_16x16x32_i8 v[224:227], a[130:131], v[130:131], v[224:227]// 00000000AB5C: D3D700E0 0F830582
	v_mfma_i32_16x16x32_i8 v[228:231], a[128:129], v[160:161], 0// 00000000AB64: D3D700E4 0A034180
	v_mfma_i32_16x16x32_i8 v[228:231], a[130:131], v[162:163], v[228:231]// 00000000AB6C: D3D700E4 0F934582
	v_mfma_i32_16x16x32_i8 v[232:235], a[132:133], v[128:129], 0// 00000000AB74: D3D700E8 0A030184
	buffer_load_dwordx4 a[4:7], v43, s[12:15], 0 offen         // 00000000AB7C: E05C1000 8083042B
	v_mfma_i32_16x16x32_i8 v[232:235], a[134:135], v[130:131], v[232:235]// 00000000AB84: D3D700E8 0FA30586
	v_mfma_i32_16x16x32_i8 v[236:239], a[132:133], v[160:161], 0// 00000000AB8C: D3D700EC 0A034184
	v_mfma_i32_16x16x32_i8 v[236:239], a[134:135], v[162:163], v[236:239]// 00000000AB94: D3D700EC 0FB34586
	v_mfma_i32_16x16x32_i8 v[240:243], a[136:137], v[128:129], 0// 00000000AB9C: D3D700F0 0A030188
	buffer_load_dwordx4 a[8:11], v44, s[12:15], 0 offen        // 00000000ABA4: E05C1000 8083082C
	v_mfma_i32_16x16x32_i8 v[240:243], a[138:139], v[130:131], v[240:243]// 00000000ABAC: D3D700F0 0FC3058A
	v_mfma_i32_16x16x32_i8 v[244:247], a[136:137], v[160:161], 0// 00000000ABB4: D3D700F4 0A034188
	v_mfma_i32_16x16x32_i8 v[244:247], a[138:139], v[162:163], v[244:247]// 00000000ABBC: D3D700F4 0FD3458A
	v_mfma_i32_16x16x32_i8 v[248:251], a[140:141], v[128:129], 0// 00000000ABC4: D3D700F8 0A03018C
	buffer_load_dwordx4 a[12:15], v45, s[12:15], 0 offen       // 00000000ABCC: E05C1000 80830C2D
	s_add_u32 s12, s78, s12                                    // 00000000ABD4: 800C0C4E
	s_addc_u32 s13, 0, s13                                     // 00000000ABD8: 820D0D80
	v_mfma_i32_16x16x32_i8 v[248:251], a[142:143], v[130:131], v[248:251]// 00000000ABDC: D3D700F8 0FE3058E
	v_mfma_i32_16x16x32_i8 v[252:255], a[140:141], v[160:161], 0// 00000000ABE4: D3D700FC 0A03418C
	v_mfma_i32_16x16x32_i8 v[252:255], a[142:143], v[162:163], v[252:255]// 00000000ABEC: D3D700FC 0FF3458E
	s_waitcnt vmcnt(45)                                        // 00000000ABF4: BF8C8F7D
	v_mfma_i32_16x16x32_i8 v[224:227], a[144:145], v[132:133], v[224:227]// 00000000ABF8: D3D700E0 0F830990
	buffer_load_dwordx4 a[16:19], v42, s[12:15], 0 offen       // 00000000AC00: E05C1000 8083102A
	v_mfma_i32_16x16x32_i8 v[224:227], a[146:147], v[134:135], v[224:227]// 00000000AC08: D3D700E0 0F830D92
	v_mfma_i32_16x16x32_i8 v[228:231], a[144:145], v[164:165], v[228:231]// 00000000AC10: D3D700E4 0F934990
	v_mfma_i32_16x16x32_i8 v[228:231], a[146:147], v[166:167], v[228:231]// 00000000AC18: D3D700E4 0F934D92
	v_mfma_i32_16x16x32_i8 v[232:235], a[148:149], v[132:133], v[232:235]// 00000000AC20: D3D700E8 0FA30994
	buffer_load_dwordx4 a[20:23], v43, s[12:15], 0 offen       // 00000000AC28: E05C1000 8083142B
	v_mfma_i32_16x16x32_i8 v[232:235], a[150:151], v[134:135], v[232:235]// 00000000AC30: D3D700E8 0FA30D96
	v_mfma_i32_16x16x32_i8 v[236:239], a[148:149], v[164:165], v[236:239]// 00000000AC38: D3D700EC 0FB34994
	v_mfma_i32_16x16x32_i8 v[236:239], a[150:151], v[166:167], v[236:239]// 00000000AC40: D3D700EC 0FB34D96
	v_mfma_i32_16x16x32_i8 v[240:243], a[152:153], v[132:133], v[240:243]// 00000000AC48: D3D700F0 0FC30998
	buffer_load_dwordx4 a[24:27], v44, s[12:15], 0 offen       // 00000000AC50: E05C1000 8083182C
	v_mfma_i32_16x16x32_i8 v[240:243], a[154:155], v[134:135], v[240:243]// 00000000AC58: D3D700F0 0FC30D9A
	v_mfma_i32_16x16x32_i8 v[244:247], a[152:153], v[164:165], v[244:247]// 00000000AC60: D3D700F4 0FD34998
	v_mfma_i32_16x16x32_i8 v[244:247], a[154:155], v[166:167], v[244:247]// 00000000AC68: D3D700F4 0FD34D9A
	v_mfma_i32_16x16x32_i8 v[248:251], a[156:157], v[132:133], v[248:251]// 00000000AC70: D3D700F8 0FE3099C
	buffer_load_dwordx4 a[28:31], v45, s[12:15], 0 offen       // 00000000AC78: E05C1000 80831C2D
	s_add_u32 s12, s78, s12                                    // 00000000AC80: 800C0C4E
	s_addc_u32 s13, 0, s13                                     // 00000000AC84: 820D0D80
	v_mfma_i32_16x16x32_i8 v[248:251], a[158:159], v[134:135], v[248:251]// 00000000AC88: D3D700F8 0FE30D9E
	v_mfma_i32_16x16x32_i8 v[252:255], a[156:157], v[164:165], v[252:255]// 00000000AC90: D3D700FC 0FF3499C
	v_mfma_i32_16x16x32_i8 v[252:255], a[158:159], v[166:167], v[252:255]// 00000000AC98: D3D700FC 0FF34D9E
	s_waitcnt vmcnt(45)                                        // 00000000ACA0: BF8C8F7D
	v_mfma_i32_16x16x32_i8 v[224:227], a[160:161], v[136:137], v[224:227]// 00000000ACA4: D3D700E0 0F8311A0
	buffer_load_dwordx4 a[32:35], v42, s[12:15], 0 offen       // 00000000ACAC: E05C1000 8083202A
	v_mfma_i32_16x16x32_i8 v[224:227], a[162:163], v[138:139], v[224:227]// 00000000ACB4: D3D700E0 0F8315A2
	v_mfma_i32_16x16x32_i8 v[228:231], a[160:161], v[168:169], v[228:231]// 00000000ACBC: D3D700E4 0F9351A0
	v_mfma_i32_16x16x32_i8 v[228:231], a[162:163], v[170:171], v[228:231]// 00000000ACC4: D3D700E4 0F9355A2
	v_mfma_i32_16x16x32_i8 v[232:235], a[164:165], v[136:137], v[232:235]// 00000000ACCC: D3D700E8 0FA311A4
	buffer_load_dwordx4 a[36:39], v43, s[12:15], 0 offen       // 00000000ACD4: E05C1000 8083242B
	v_mfma_i32_16x16x32_i8 v[232:235], a[166:167], v[138:139], v[232:235]// 00000000ACDC: D3D700E8 0FA315A6
	v_mfma_i32_16x16x32_i8 v[236:239], a[164:165], v[168:169], v[236:239]// 00000000ACE4: D3D700EC 0FB351A4
	v_mfma_i32_16x16x32_i8 v[236:239], a[166:167], v[170:171], v[236:239]// 00000000ACEC: D3D700EC 0FB355A6
	v_mfma_i32_16x16x32_i8 v[240:243], a[168:169], v[136:137], v[240:243]// 00000000ACF4: D3D700F0 0FC311A8
	buffer_load_dwordx4 a[40:43], v44, s[12:15], 0 offen       // 00000000ACFC: E05C1000 8083282C
	v_mfma_i32_16x16x32_i8 v[240:243], a[170:171], v[138:139], v[240:243]// 00000000AD04: D3D700F0 0FC315AA
	v_mfma_i32_16x16x32_i8 v[244:247], a[168:169], v[168:169], v[244:247]// 00000000AD0C: D3D700F4 0FD351A8
	v_mfma_i32_16x16x32_i8 v[244:247], a[170:171], v[170:171], v[244:247]// 00000000AD14: D3D700F4 0FD355AA
	v_mfma_i32_16x16x32_i8 v[248:251], a[172:173], v[136:137], v[248:251]// 00000000AD1C: D3D700F8 0FE311AC
	buffer_load_dwordx4 a[44:47], v45, s[12:15], 0 offen       // 00000000AD24: E05C1000 80832C2D
	s_add_u32 s12, s78, s12                                    // 00000000AD2C: 800C0C4E
	s_addc_u32 s13, 0, s13                                     // 00000000AD30: 820D0D80
	v_mfma_i32_16x16x32_i8 v[248:251], a[174:175], v[138:139], v[248:251]// 00000000AD34: D3D700F8 0FE315AE
	v_mfma_i32_16x16x32_i8 v[252:255], a[172:173], v[168:169], v[252:255]// 00000000AD3C: D3D700FC 0FF351AC
	v_mfma_i32_16x16x32_i8 v[252:255], a[174:175], v[170:171], v[252:255]// 00000000AD44: D3D700FC 0FF355AE
	s_waitcnt vmcnt(45)                                        // 00000000AD4C: BF8C8F7D
	v_mfma_i32_16x16x32_i8 v[224:227], a[176:177], v[140:141], v[224:227]// 00000000AD50: D3D700E0 0F8319B0
	buffer_load_dwordx4 a[48:51], v42, s[12:15], 0 offen       // 00000000AD58: E05C1000 8083302A
	v_mfma_i32_16x16x32_i8 v[224:227], a[178:179], v[142:143], v[224:227]// 00000000AD60: D3D700E0 0F831DB2
	v_mfma_i32_16x16x32_i8 v[228:231], a[176:177], v[172:173], v[228:231]// 00000000AD68: D3D700E4 0F9359B0
	v_mfma_i32_16x16x32_i8 v[228:231], a[178:179], v[174:175], v[228:231]// 00000000AD70: D3D700E4 0F935DB2
	v_mfma_i32_16x16x32_i8 v[232:235], a[180:181], v[140:141], v[232:235]// 00000000AD78: D3D700E8 0FA319B4
	buffer_load_dwordx4 a[52:55], v43, s[12:15], 0 offen       // 00000000AD80: E05C1000 8083342B
	v_mfma_i32_16x16x32_i8 v[232:235], a[182:183], v[142:143], v[232:235]// 00000000AD88: D3D700E8 0FA31DB6
	v_mfma_i32_16x16x32_i8 v[236:239], a[180:181], v[172:173], v[236:239]// 00000000AD90: D3D700EC 0FB359B4
	v_mfma_i32_16x16x32_i8 v[236:239], a[182:183], v[174:175], v[236:239]// 00000000AD98: D3D700EC 0FB35DB6
	v_mfma_i32_16x16x32_i8 v[240:243], a[184:185], v[140:141], v[240:243]// 00000000ADA0: D3D700F0 0FC319B8
	buffer_load_dwordx4 a[56:59], v44, s[12:15], 0 offen       // 00000000ADA8: E05C1000 8083382C
	v_mfma_i32_16x16x32_i8 v[240:243], a[186:187], v[142:143], v[240:243]// 00000000ADB0: D3D700F0 0FC31DBA
	v_mfma_i32_16x16x32_i8 v[244:247], a[184:185], v[172:173], v[244:247]// 00000000ADB8: D3D700F4 0FD359B8
	v_mfma_i32_16x16x32_i8 v[244:247], a[186:187], v[174:175], v[244:247]// 00000000ADC0: D3D700F4 0FD35DBA
	v_mfma_i32_16x16x32_i8 v[248:251], a[188:189], v[140:141], v[248:251]// 00000000ADC8: D3D700F8 0FE319BC
	buffer_load_dwordx4 a[60:63], v45, s[12:15], 0 offen       // 00000000ADD0: E05C1000 80833C2D
	s_add_u32 s12, s78, s12                                    // 00000000ADD8: 800C0C4E
	s_addc_u32 s13, 0, s13                                     // 00000000ADDC: 820D0D80
	v_mfma_i32_16x16x32_i8 v[248:251], a[190:191], v[142:143], v[248:251]// 00000000ADE0: D3D700F8 0FE31DBE
	v_mfma_i32_16x16x32_i8 v[252:255], a[188:189], v[172:173], v[252:255]// 00000000ADE8: D3D700FC 0FF359BC
	v_mfma_i32_16x16x32_i8 v[252:255], a[190:191], v[174:175], v[252:255]// 00000000ADF0: D3D700FC 0FF35DBE
	s_waitcnt vmcnt(45)                                        // 00000000ADF8: BF8C8F7D
	v_mfma_i32_16x16x32_i8 v[224:227], a[192:193], v[144:145], v[224:227]// 00000000ADFC: D3D700E0 0F8321C0
	buffer_load_dwordx4 a[64:67], v42, s[12:15], 0 offen       // 00000000AE04: E05C1000 8083402A
	v_mfma_i32_16x16x32_i8 v[224:227], a[194:195], v[146:147], v[224:227]// 00000000AE0C: D3D700E0 0F8325C2
	v_mfma_i32_16x16x32_i8 v[228:231], a[192:193], v[176:177], v[228:231]// 00000000AE14: D3D700E4 0F9361C0
	v_mfma_i32_16x16x32_i8 v[228:231], a[194:195], v[178:179], v[228:231]// 00000000AE1C: D3D700E4 0F9365C2
	v_mfma_i32_16x16x32_i8 v[232:235], a[196:197], v[144:145], v[232:235]// 00000000AE24: D3D700E8 0FA321C4
	buffer_load_dwordx4 a[68:71], v43, s[12:15], 0 offen       // 00000000AE2C: E05C1000 8083442B
	v_mfma_i32_16x16x32_i8 v[232:235], a[198:199], v[146:147], v[232:235]// 00000000AE34: D3D700E8 0FA325C6
	v_mfma_i32_16x16x32_i8 v[236:239], a[196:197], v[176:177], v[236:239]// 00000000AE3C: D3D700EC 0FB361C4
	v_mfma_i32_16x16x32_i8 v[236:239], a[198:199], v[178:179], v[236:239]// 00000000AE44: D3D700EC 0FB365C6
	v_mfma_i32_16x16x32_i8 v[240:243], a[200:201], v[144:145], v[240:243]// 00000000AE4C: D3D700F0 0FC321C8
	buffer_load_dwordx4 a[72:75], v44, s[12:15], 0 offen       // 00000000AE54: E05C1000 8083482C
	v_mfma_i32_16x16x32_i8 v[240:243], a[202:203], v[146:147], v[240:243]// 00000000AE5C: D3D700F0 0FC325CA
	v_mfma_i32_16x16x32_i8 v[244:247], a[200:201], v[176:177], v[244:247]// 00000000AE64: D3D700F4 0FD361C8
	v_mfma_i32_16x16x32_i8 v[244:247], a[202:203], v[178:179], v[244:247]// 00000000AE6C: D3D700F4 0FD365CA
	v_mfma_i32_16x16x32_i8 v[248:251], a[204:205], v[144:145], v[248:251]// 00000000AE74: D3D700F8 0FE321CC
	buffer_load_dwordx4 a[76:79], v45, s[12:15], 0 offen       // 00000000AE7C: E05C1000 80834C2D
	s_add_u32 s12, s78, s12                                    // 00000000AE84: 800C0C4E
	s_addc_u32 s13, 0, s13                                     // 00000000AE88: 820D0D80
	v_mfma_i32_16x16x32_i8 v[248:251], a[206:207], v[146:147], v[248:251]// 00000000AE8C: D3D700F8 0FE325CE
	v_mfma_i32_16x16x32_i8 v[252:255], a[204:205], v[176:177], v[252:255]// 00000000AE94: D3D700FC 0FF361CC
	v_mfma_i32_16x16x32_i8 v[252:255], a[206:207], v[178:179], v[252:255]// 00000000AE9C: D3D700FC 0FF365CE
	s_waitcnt vmcnt(45)                                        // 00000000AEA4: BF8C8F7D
	v_mfma_i32_16x16x32_i8 v[224:227], a[208:209], v[148:149], v[224:227]// 00000000AEA8: D3D700E0 0F8329D0
	buffer_load_dwordx4 a[80:83], v42, s[12:15], 0 offen       // 00000000AEB0: E05C1000 8083502A
	v_mfma_i32_16x16x32_i8 v[224:227], a[210:211], v[150:151], v[224:227]// 00000000AEB8: D3D700E0 0F832DD2
	v_mfma_i32_16x16x32_i8 v[228:231], a[208:209], v[180:181], v[228:231]// 00000000AEC0: D3D700E4 0F9369D0
	v_mfma_i32_16x16x32_i8 v[228:231], a[210:211], v[182:183], v[228:231]// 00000000AEC8: D3D700E4 0F936DD2
	v_mfma_i32_16x16x32_i8 v[232:235], a[212:213], v[148:149], v[232:235]// 00000000AED0: D3D700E8 0FA329D4
	buffer_load_dwordx4 a[84:87], v43, s[12:15], 0 offen       // 00000000AED8: E05C1000 8083542B
	v_mfma_i32_16x16x32_i8 v[232:235], a[214:215], v[150:151], v[232:235]// 00000000AEE0: D3D700E8 0FA32DD6
	v_mfma_i32_16x16x32_i8 v[236:239], a[212:213], v[180:181], v[236:239]// 00000000AEE8: D3D700EC 0FB369D4
	v_mfma_i32_16x16x32_i8 v[236:239], a[214:215], v[182:183], v[236:239]// 00000000AEF0: D3D700EC 0FB36DD6
	v_mfma_i32_16x16x32_i8 v[240:243], a[216:217], v[148:149], v[240:243]// 00000000AEF8: D3D700F0 0FC329D8
	buffer_load_dwordx4 a[88:91], v44, s[12:15], 0 offen       // 00000000AF00: E05C1000 8083582C
	v_mfma_i32_16x16x32_i8 v[240:243], a[218:219], v[150:151], v[240:243]// 00000000AF08: D3D700F0 0FC32DDA
	v_mfma_i32_16x16x32_i8 v[244:247], a[216:217], v[180:181], v[244:247]// 00000000AF10: D3D700F4 0FD369D8
	v_mfma_i32_16x16x32_i8 v[244:247], a[218:219], v[182:183], v[244:247]// 00000000AF18: D3D700F4 0FD36DDA
	v_mfma_i32_16x16x32_i8 v[248:251], a[220:221], v[148:149], v[248:251]// 00000000AF20: D3D700F8 0FE329DC
	buffer_load_dwordx4 a[92:95], v45, s[12:15], 0 offen       // 00000000AF28: E05C1000 80835C2D
	s_add_u32 s12, s78, s12                                    // 00000000AF30: 800C0C4E
	s_addc_u32 s13, 0, s13                                     // 00000000AF34: 820D0D80
	v_mfma_i32_16x16x32_i8 v[248:251], a[222:223], v[150:151], v[248:251]// 00000000AF38: D3D700F8 0FE32DDE
	v_mfma_i32_16x16x32_i8 v[252:255], a[220:221], v[180:181], v[252:255]// 00000000AF40: D3D700FC 0FF369DC
	v_mfma_i32_16x16x32_i8 v[252:255], a[222:223], v[182:183], v[252:255]// 00000000AF48: D3D700FC 0FF36DDE
	s_waitcnt vmcnt(45)                                        // 00000000AF50: BF8C8F7D
	v_mfma_i32_16x16x32_i8 v[224:227], a[224:225], v[152:153], v[224:227]// 00000000AF54: D3D700E0 0F8331E0
	buffer_load_dwordx4 a[96:99], v42, s[12:15], 0 offen       // 00000000AF5C: E05C1000 8083602A
	v_mfma_i32_16x16x32_i8 v[224:227], a[226:227], v[154:155], v[224:227]// 00000000AF64: D3D700E0 0F8335E2
	v_mfma_i32_16x16x32_i8 v[228:231], a[224:225], v[184:185], v[228:231]// 00000000AF6C: D3D700E4 0F9371E0
	v_mfma_i32_16x16x32_i8 v[228:231], a[226:227], v[186:187], v[228:231]// 00000000AF74: D3D700E4 0F9375E2
	v_mfma_i32_16x16x32_i8 v[232:235], a[228:229], v[152:153], v[232:235]// 00000000AF7C: D3D700E8 0FA331E4
	buffer_load_dwordx4 a[100:103], v43, s[12:15], 0 offen     // 00000000AF84: E05C1000 8083642B
	v_mfma_i32_16x16x32_i8 v[232:235], a[230:231], v[154:155], v[232:235]// 00000000AF8C: D3D700E8 0FA335E6
	v_mfma_i32_16x16x32_i8 v[236:239], a[228:229], v[184:185], v[236:239]// 00000000AF94: D3D700EC 0FB371E4
	v_mfma_i32_16x16x32_i8 v[236:239], a[230:231], v[186:187], v[236:239]// 00000000AF9C: D3D700EC 0FB375E6
	v_mfma_i32_16x16x32_i8 v[240:243], a[232:233], v[152:153], v[240:243]// 00000000AFA4: D3D700F0 0FC331E8
	buffer_load_dwordx4 a[104:107], v44, s[12:15], 0 offen     // 00000000AFAC: E05C1000 8083682C
	v_mfma_i32_16x16x32_i8 v[240:243], a[234:235], v[154:155], v[240:243]// 00000000AFB4: D3D700F0 0FC335EA
	v_mfma_i32_16x16x32_i8 v[244:247], a[232:233], v[184:185], v[244:247]// 00000000AFBC: D3D700F4 0FD371E8
	v_mfma_i32_16x16x32_i8 v[244:247], a[234:235], v[186:187], v[244:247]// 00000000AFC4: D3D700F4 0FD375EA
	v_mfma_i32_16x16x32_i8 v[248:251], a[236:237], v[152:153], v[248:251]// 00000000AFCC: D3D700F8 0FE331EC
	buffer_load_dwordx4 a[108:111], v45, s[12:15], 0 offen     // 00000000AFD4: E05C1000 80836C2D
	s_add_u32 s12, s78, s12                                    // 00000000AFDC: 800C0C4E
	s_addc_u32 s13, 0, s13                                     // 00000000AFE0: 820D0D80
	v_mfma_i32_16x16x32_i8 v[248:251], a[238:239], v[154:155], v[248:251]// 00000000AFE4: D3D700F8 0FE335EE
	v_mfma_i32_16x16x32_i8 v[252:255], a[236:237], v[184:185], v[252:255]// 00000000AFEC: D3D700FC 0FF371EC
	v_mfma_i32_16x16x32_i8 v[252:255], a[238:239], v[186:187], v[252:255]// 00000000AFF4: D3D700FC 0FF375EE
	s_waitcnt vmcnt(44)                                        // 00000000AFFC: BF8C8F7C
	v_mfma_i32_16x16x32_i8 v[224:227], a[240:241], v[156:157], v[224:227]// 00000000B000: D3D700E0 0F8339F0
	buffer_load_dwordx4 a[112:115], v42, s[12:15], 0 offen     // 00000000B008: E05C1000 8083702A
	v_mfma_i32_16x16x32_i8 v[224:227], a[242:243], v[158:159], v[224:227]// 00000000B010: D3D700E0 0F833DF2
	v_mfma_i32_16x16x32_i8 v[228:231], a[240:241], v[188:189], v[228:231]// 00000000B018: D3D700E4 0F9379F0
	buffer_load_dword v12, v5, s[16:19], 0 offen               // 00000000B020: E0501000 80040C05
	v_mfma_i32_16x16x32_i8 v[228:231], a[242:243], v[190:191], v[228:231]// 00000000B028: D3D700E4 0F937DF2
	v_mfma_i32_16x16x32_i8 v[232:235], a[244:245], v[156:157], v[232:235]// 00000000B030: D3D700E8 0FA339F4
	buffer_load_dwordx4 a[116:119], v43, s[12:15], 0 offen     // 00000000B038: E05C1000 8083742B
	v_mfma_i32_16x16x32_i8 v[232:235], a[246:247], v[158:159], v[232:235]// 00000000B040: D3D700E8 0FA33DF6
	v_mfma_i32_16x16x32_i8 v[236:239], a[244:245], v[188:189], v[236:239]// 00000000B048: D3D700EC 0FB379F4
	v_mfma_i32_16x16x32_i8 v[236:239], a[246:247], v[190:191], v[236:239]// 00000000B050: D3D700EC 0FB37DF6
	v_mfma_i32_16x16x32_i8 v[240:243], a[248:249], v[156:157], v[240:243]// 00000000B058: D3D700F0 0FC339F8
	buffer_load_dwordx4 a[120:123], v44, s[12:15], 0 offen     // 00000000B060: E05C1000 8083782C
	v_mfma_i32_16x16x32_i8 v[240:243], a[250:251], v[158:159], v[240:243]// 00000000B068: D3D700F0 0FC33DFA
	v_mfma_i32_16x16x32_i8 v[244:247], a[248:249], v[188:189], v[244:247]// 00000000B070: D3D700F4 0FD379F8
	v_mfma_i32_16x16x32_i8 v[244:247], a[250:251], v[190:191], v[244:247]// 00000000B078: D3D700F4 0FD37DFA
	v_mfma_i32_16x16x32_i8 v[248:251], a[252:253], v[156:157], v[248:251]// 00000000B080: D3D700F8 0FE339FC
	buffer_load_dwordx4 a[124:127], v45, s[12:15], 0 offen     // 00000000B088: E05C1000 80837C2D
	v_mfma_i32_16x16x32_i8 v[248:251], a[254:255], v[158:159], v[248:251]// 00000000B090: D3D700F8 0FE33DFE
	v_mfma_i32_16x16x32_i8 v[252:255], a[252:253], v[188:189], v[252:255]// 00000000B098: D3D700FC 0FF379FC
	v_mfma_i32_16x16x32_i8 v[252:255], a[254:255], v[190:191], v[252:255]// 00000000B0A0: D3D700FC 0FF37DFE
	s_add_u32 s60, 0x200, s80                                  // 00000000B0A8: 803C50FF 00000200
	s_cmp_lt_u32 s60, s81                                      // 00000000B0B0: BF0A513C
	s_cselect_b32 s56, s56, 0                                  // 00000000B0B4: 85388038
	s_cselect_b32 s78, s78, 0                                  // 00000000B0B8: 854E804E
	s_cselect_b32 s79, s79, 0                                  // 00000000B0BC: 854F804F
	s_add_u32 s12, s56, s12                                    // 00000000B0C0: 800C0C38
	s_addc_u32 s13, 0, s13                                     // 00000000B0C4: 820D0D80
	s_add_u32 s16, s79, s16                                    // 00000000B0C8: 8010104F
	s_addc_u32 s17, 0, s17                                     // 00000000B0CC: 82111180
	v_cvt_f32_i32_e32 v224, v224                               // 00000000B0D0: 7FC00BE0
	v_cvt_f32_i32_e32 v225, v225                               // 00000000B0D4: 7FC20BE1
	v_cvt_f32_i32_e32 v226, v226                               // 00000000B0D8: 7FC40BE2
	v_cvt_f32_i32_e32 v227, v227                               // 00000000B0DC: 7FC60BE3
	v_mul_f32_e32 v224, v24, v224                              // 00000000B0E0: 0BC1C118
	v_mul_f32_e32 v225, v24, v225                              // 00000000B0E4: 0BC3C318
	v_mul_f32_e32 v226, v24, v226                              // 00000000B0E8: 0BC5C518
	v_mul_f32_e32 v227, v24, v227                              // 00000000B0EC: 0BC7C718
	v_mul_f32_dpp v224, v13, v224 row_newbcast:0 row_mask:0xf bank_mask:0xf// 00000000B0F0: 0BC1C0FA FF01500D
	v_mul_f32_dpp v225, v13, v225 row_newbcast:1 row_mask:0xf bank_mask:0xf// 00000000B0F8: 0BC3C2FA FF01510D
	v_mul_f32_dpp v226, v13, v226 row_newbcast:2 row_mask:0xf bank_mask:0xf// 00000000B100: 0BC5C4FA FF01520D
	v_mul_f32_dpp v227, v13, v227 row_newbcast:3 row_mask:0xf bank_mask:0xf// 00000000B108: 0BC7C6FA FF01530D
	v_mul_f32_e32 v224, v20, v224                              // 00000000B110: 0BC1C114
	v_mul_f32_e32 v225, v20, v225                              // 00000000B114: 0BC3C314
	v_mul_f32_e32 v226, v20, v226                              // 00000000B118: 0BC5C514
	v_mul_f32_e32 v227, v20, v227                              // 00000000B11C: 0BC7C714
	v_cvt_f32_i32_e32 v228, v228                               // 00000000B120: 7FC80BE4
	v_cvt_f32_i32_e32 v229, v229                               // 00000000B124: 7FCA0BE5
	v_cvt_f32_i32_e32 v230, v230                               // 00000000B128: 7FCC0BE6
	v_cvt_f32_i32_e32 v231, v231                               // 00000000B12C: 7FCE0BE7
	v_mul_f32_e32 v228, v25, v228                              // 00000000B130: 0BC9C919
	v_mul_f32_e32 v229, v25, v229                              // 00000000B134: 0BCBCB19
	v_mul_f32_e32 v230, v25, v230                              // 00000000B138: 0BCDCD19
	v_mul_f32_e32 v231, v25, v231                              // 00000000B13C: 0BCFCF19
	v_mul_f32_dpp v228, v13, v228 row_newbcast:0 row_mask:0xf bank_mask:0xf// 00000000B140: 0BC9C8FA FF01500D
	v_mul_f32_dpp v229, v13, v229 row_newbcast:1 row_mask:0xf bank_mask:0xf// 00000000B148: 0BCBCAFA FF01510D
	v_mul_f32_dpp v230, v13, v230 row_newbcast:2 row_mask:0xf bank_mask:0xf// 00000000B150: 0BCDCCFA FF01520D
	v_mul_f32_dpp v231, v13, v231 row_newbcast:3 row_mask:0xf bank_mask:0xf// 00000000B158: 0BCFCEFA FF01530D
	v_mul_f32_e32 v228, v21, v228                              // 00000000B160: 0BC9C915
	v_mul_f32_e32 v229, v21, v229                              // 00000000B164: 0BCBCB15
	v_mul_f32_e32 v230, v21, v230                              // 00000000B168: 0BCDCD15
	v_mul_f32_e32 v231, v21, v231                              // 00000000B16C: 0BCFCF15
	v_cvt_f32_i32_e32 v232, v232                               // 00000000B170: 7FD00BE8
	v_cvt_f32_i32_e32 v233, v233                               // 00000000B174: 7FD20BE9
	v_cvt_f32_i32_e32 v234, v234                               // 00000000B178: 7FD40BEA
	v_cvt_f32_i32_e32 v235, v235                               // 00000000B17C: 7FD60BEB
	v_mul_f32_e32 v232, v24, v232                              // 00000000B180: 0BD1D118
	v_mul_f32_e32 v233, v24, v233                              // 00000000B184: 0BD3D318
	v_mul_f32_e32 v234, v24, v234                              // 00000000B188: 0BD5D518
	v_mul_f32_e32 v235, v24, v235                              // 00000000B18C: 0BD7D718
	v_mul_f32_dpp v232, v13, v232 row_newbcast:4 row_mask:0xf bank_mask:0xf// 00000000B190: 0BD1D0FA FF01540D
	v_mul_f32_dpp v233, v13, v233 row_newbcast:5 row_mask:0xf bank_mask:0xf// 00000000B198: 0BD3D2FA FF01550D
	v_mul_f32_dpp v234, v13, v234 row_newbcast:6 row_mask:0xf bank_mask:0xf// 00000000B1A0: 0BD5D4FA FF01560D
	v_mul_f32_dpp v235, v13, v235 row_newbcast:7 row_mask:0xf bank_mask:0xf// 00000000B1A8: 0BD7D6FA FF01570D
	v_mul_f32_e32 v232, v20, v232                              // 00000000B1B0: 0BD1D114
	v_mul_f32_e32 v233, v20, v233                              // 00000000B1B4: 0BD3D314
	v_mul_f32_e32 v234, v20, v234                              // 00000000B1B8: 0BD5D514
	v_mul_f32_e32 v235, v20, v235                              // 00000000B1BC: 0BD7D714
	v_cvt_f32_i32_e32 v236, v236                               // 00000000B1C0: 7FD80BEC
	v_cvt_f32_i32_e32 v237, v237                               // 00000000B1C4: 7FDA0BED
	v_cvt_f32_i32_e32 v238, v238                               // 00000000B1C8: 7FDC0BEE
	v_cvt_f32_i32_e32 v239, v239                               // 00000000B1CC: 7FDE0BEF
	v_mul_f32_e32 v236, v25, v236                              // 00000000B1D0: 0BD9D919
	v_mul_f32_e32 v237, v25, v237                              // 00000000B1D4: 0BDBDB19
	v_mul_f32_e32 v238, v25, v238                              // 00000000B1D8: 0BDDDD19
	v_mul_f32_e32 v239, v25, v239                              // 00000000B1DC: 0BDFDF19
	v_mul_f32_dpp v236, v13, v236 row_newbcast:4 row_mask:0xf bank_mask:0xf// 00000000B1E0: 0BD9D8FA FF01540D
	v_mul_f32_dpp v237, v13, v237 row_newbcast:5 row_mask:0xf bank_mask:0xf// 00000000B1E8: 0BDBDAFA FF01550D
	v_mul_f32_dpp v238, v13, v238 row_newbcast:6 row_mask:0xf bank_mask:0xf// 00000000B1F0: 0BDDDCFA FF01560D
	v_mul_f32_dpp v239, v13, v239 row_newbcast:7 row_mask:0xf bank_mask:0xf// 00000000B1F8: 0BDFDEFA FF01570D
	v_mul_f32_e32 v236, v21, v236                              // 00000000B200: 0BD9D915
	v_mul_f32_e32 v237, v21, v237                              // 00000000B204: 0BDBDB15
	v_mul_f32_e32 v238, v21, v238                              // 00000000B208: 0BDDDD15
	v_mul_f32_e32 v239, v21, v239                              // 00000000B20C: 0BDFDF15
	v_cvt_f32_i32_e32 v240, v240                               // 00000000B210: 7FE00BF0
	v_cvt_f32_i32_e32 v241, v241                               // 00000000B214: 7FE20BF1
	v_cvt_f32_i32_e32 v242, v242                               // 00000000B218: 7FE40BF2
	v_cvt_f32_i32_e32 v243, v243                               // 00000000B21C: 7FE60BF3
	v_mul_f32_e32 v240, v24, v240                              // 00000000B220: 0BE1E118
	v_mul_f32_e32 v241, v24, v241                              // 00000000B224: 0BE3E318
	v_mul_f32_e32 v242, v24, v242                              // 00000000B228: 0BE5E518
	v_mul_f32_e32 v243, v24, v243                              // 00000000B22C: 0BE7E718
	v_mul_f32_dpp v240, v13, v240 row_newbcast:8 row_mask:0xf bank_mask:0xf// 00000000B230: 0BE1E0FA FF01580D
	v_mul_f32_dpp v241, v13, v241 row_newbcast:9 row_mask:0xf bank_mask:0xf// 00000000B238: 0BE3E2FA FF01590D
	v_mul_f32_dpp v242, v13, v242 row_newbcast:10 row_mask:0xf bank_mask:0xf// 00000000B240: 0BE5E4FA FF015A0D
	v_mul_f32_dpp v243, v13, v243 row_newbcast:11 row_mask:0xf bank_mask:0xf// 00000000B248: 0BE7E6FA FF015B0D
	v_mul_f32_e32 v240, v20, v240                              // 00000000B250: 0BE1E114
	v_mul_f32_e32 v241, v20, v241                              // 00000000B254: 0BE3E314
	v_mul_f32_e32 v242, v20, v242                              // 00000000B258: 0BE5E514
	v_mul_f32_e32 v243, v20, v243                              // 00000000B25C: 0BE7E714
	v_cvt_f32_i32_e32 v244, v244                               // 00000000B260: 7FE80BF4
	v_cvt_f32_i32_e32 v245, v245                               // 00000000B264: 7FEA0BF5
	v_cvt_f32_i32_e32 v246, v246                               // 00000000B268: 7FEC0BF6
	v_cvt_f32_i32_e32 v247, v247                               // 00000000B26C: 7FEE0BF7
	v_mul_f32_e32 v244, v25, v244                              // 00000000B270: 0BE9E919
	v_mul_f32_e32 v245, v25, v245                              // 00000000B274: 0BEBEB19
	v_mul_f32_e32 v246, v25, v246                              // 00000000B278: 0BEDED19
	v_mul_f32_e32 v247, v25, v247                              // 00000000B27C: 0BEFEF19
	v_mul_f32_dpp v244, v13, v244 row_newbcast:8 row_mask:0xf bank_mask:0xf// 00000000B280: 0BE9E8FA FF01580D
	v_mul_f32_dpp v245, v13, v245 row_newbcast:9 row_mask:0xf bank_mask:0xf// 00000000B288: 0BEBEAFA FF01590D
	v_mul_f32_dpp v246, v13, v246 row_newbcast:10 row_mask:0xf bank_mask:0xf// 00000000B290: 0BEDECFA FF015A0D
	v_mul_f32_dpp v247, v13, v247 row_newbcast:11 row_mask:0xf bank_mask:0xf// 00000000B298: 0BEFEEFA FF015B0D
	v_mul_f32_e32 v244, v21, v244                              // 00000000B2A0: 0BE9E915
	v_mul_f32_e32 v245, v21, v245                              // 00000000B2A4: 0BEBEB15
	v_mul_f32_e32 v246, v21, v246                              // 00000000B2A8: 0BEDED15
	v_mul_f32_e32 v247, v21, v247                              // 00000000B2AC: 0BEFEF15
	v_cvt_f32_i32_e32 v248, v248                               // 00000000B2B0: 7FF00BF8
	v_cvt_f32_i32_e32 v249, v249                               // 00000000B2B4: 7FF20BF9
	v_cvt_f32_i32_e32 v250, v250                               // 00000000B2B8: 7FF40BFA
	v_cvt_f32_i32_e32 v251, v251                               // 00000000B2BC: 7FF60BFB
	v_mul_f32_e32 v248, v24, v248                              // 00000000B2C0: 0BF1F118
	v_mul_f32_e32 v249, v24, v249                              // 00000000B2C4: 0BF3F318
	v_mul_f32_e32 v250, v24, v250                              // 00000000B2C8: 0BF5F518
	v_mul_f32_e32 v251, v24, v251                              // 00000000B2CC: 0BF7F718
	v_mul_f32_dpp v248, v13, v248 row_newbcast:12 row_mask:0xf bank_mask:0xf// 00000000B2D0: 0BF1F0FA FF015C0D
	v_mul_f32_dpp v249, v13, v249 row_newbcast:13 row_mask:0xf bank_mask:0xf// 00000000B2D8: 0BF3F2FA FF015D0D
	v_mul_f32_dpp v250, v13, v250 row_newbcast:14 row_mask:0xf bank_mask:0xf// 00000000B2E0: 0BF5F4FA FF015E0D
	v_mul_f32_dpp v251, v13, v251 row_newbcast:15 row_mask:0xf bank_mask:0xf// 00000000B2E8: 0BF7F6FA FF015F0D
	v_mul_f32_e32 v248, v20, v248                              // 00000000B2F0: 0BF1F114
	v_mul_f32_e32 v249, v20, v249                              // 00000000B2F4: 0BF3F314
	v_mul_f32_e32 v250, v20, v250                              // 00000000B2F8: 0BF5F514
	v_mul_f32_e32 v251, v20, v251                              // 00000000B2FC: 0BF7F714
	v_cvt_f32_i32_e32 v252, v252                               // 00000000B300: 7FF80BFC
	v_cvt_f32_i32_e32 v253, v253                               // 00000000B304: 7FFA0BFD
	v_cvt_f32_i32_e32 v254, v254                               // 00000000B308: 7FFC0BFE
	v_cvt_f32_i32_e32 v255, v255                               // 00000000B30C: 7FFE0BFF
	v_mul_f32_e32 v252, v25, v252                              // 00000000B310: 0BF9F919
	v_mul_f32_e32 v253, v25, v253                              // 00000000B314: 0BFBFB19
	v_mul_f32_e32 v254, v25, v254                              // 00000000B318: 0BFDFD19
	v_mul_f32_e32 v255, v25, v255                              // 00000000B31C: 0BFFFF19
	v_mul_f32_dpp v252, v13, v252 row_newbcast:12 row_mask:0xf bank_mask:0xf// 00000000B320: 0BF9F8FA FF015C0D
	v_mul_f32_dpp v253, v13, v253 row_newbcast:13 row_mask:0xf bank_mask:0xf// 00000000B328: 0BFBFAFA FF015D0D
	v_mul_f32_dpp v254, v13, v254 row_newbcast:14 row_mask:0xf bank_mask:0xf// 00000000B330: 0BFDFCFA FF015E0D
	v_mul_f32_dpp v255, v13, v255 row_newbcast:15 row_mask:0xf bank_mask:0xf// 00000000B338: 0BFFFEFA FF015F0D
	v_mul_f32_e32 v252, v21, v252                              // 00000000B340: 0BF9F915
	v_mul_f32_e32 v253, v21, v253                              // 00000000B344: 0BFBFB15
	v_mul_f32_e32 v254, v21, v254                              // 00000000B348: 0BFDFD15
	v_mul_f32_e32 v255, v21, v255                              // 00000000B34C: 0BFFFF15
	v_cmp_u_f32_e64 s[48:49], v224, v224                       // 00000000B350: D0480030 0003C1E0
	v_add3_u32 v46, v224, v49, 1                               // 00000000B358: D1FF002E 020663E0
	v_cndmask_b32_e64 v50, v46, v48, s[48:49]                  // 00000000B360: D1000032 00C2612E
	v_cmp_u_f32_e64 s[48:49], v225, v225                       // 00000000B368: D0480030 0003C3E1
	v_add3_u32 v46, v225, v49, 1                               // 00000000B370: D1FF002E 020663E1
	v_cndmask_b32_e64 v51, v46, v48, s[48:49]                  // 00000000B378: D1000033 00C2612E
	v_perm_b32 v224, v51, v50, s52                             // 00000000B380: D1ED00E0 00D26533
	v_cmp_u_f32_e64 s[48:49], v226, v226                       // 00000000B388: D0480030 0003C5E2
	v_add3_u32 v46, v226, v49, 1                               // 00000000B390: D1FF002E 020663E2
	v_cndmask_b32_e64 v50, v46, v48, s[48:49]                  // 00000000B398: D1000032 00C2612E
	v_cmp_u_f32_e64 s[48:49], v227, v227                       // 00000000B3A0: D0480030 0003C7E3
	v_add3_u32 v46, v227, v49, 1                               // 00000000B3A8: D1FF002E 020663E3
	v_cndmask_b32_e64 v51, v46, v48, s[48:49]                  // 00000000B3B0: D1000033 00C2612E
	v_perm_b32 v225, v51, v50, s52                             // 00000000B3B8: D1ED00E1 00D26533
	v_cmp_u_f32_e64 s[48:49], v228, v228                       // 00000000B3C0: D0480030 0003C9E4
	v_add3_u32 v46, v228, v49, 1                               // 00000000B3C8: D1FF002E 020663E4
	v_cndmask_b32_e64 v50, v46, v48, s[48:49]                  // 00000000B3D0: D1000032 00C2612E
	v_cmp_u_f32_e64 s[48:49], v229, v229                       // 00000000B3D8: D0480030 0003CBE5
	v_add3_u32 v46, v229, v49, 1                               // 00000000B3E0: D1FF002E 020663E5
	v_cndmask_b32_e64 v51, v46, v48, s[48:49]                  // 00000000B3E8: D1000033 00C2612E
	v_perm_b32 v226, v51, v50, s52                             // 00000000B3F0: D1ED00E2 00D26533
	v_cmp_u_f32_e64 s[48:49], v230, v230                       // 00000000B3F8: D0480030 0003CDE6
	v_add3_u32 v46, v230, v49, 1                               // 00000000B400: D1FF002E 020663E6
	v_cndmask_b32_e64 v50, v46, v48, s[48:49]                  // 00000000B408: D1000032 00C2612E
	v_cmp_u_f32_e64 s[48:49], v231, v231                       // 00000000B410: D0480030 0003CFE7
	v_add3_u32 v46, v231, v49, 1                               // 00000000B418: D1FF002E 020663E7
	v_cndmask_b32_e64 v51, v46, v48, s[48:49]                  // 00000000B420: D1000033 00C2612E
	v_perm_b32 v227, v51, v50, s52                             // 00000000B428: D1ED00E3 00D26533
	v_cmp_u_f32_e64 s[48:49], v232, v232                       // 00000000B430: D0480030 0003D1E8
	v_add3_u32 v46, v232, v49, 1                               // 00000000B438: D1FF002E 020663E8
	v_cndmask_b32_e64 v50, v46, v48, s[48:49]                  // 00000000B440: D1000032 00C2612E
	v_cmp_u_f32_e64 s[48:49], v233, v233                       // 00000000B448: D0480030 0003D3E9
	v_add3_u32 v46, v233, v49, 1                               // 00000000B450: D1FF002E 020663E9
	v_cndmask_b32_e64 v51, v46, v48, s[48:49]                  // 00000000B458: D1000033 00C2612E
	v_perm_b32 v228, v51, v50, s52                             // 00000000B460: D1ED00E4 00D26533
	v_cmp_u_f32_e64 s[48:49], v234, v234                       // 00000000B468: D0480030 0003D5EA
	v_add3_u32 v46, v234, v49, 1                               // 00000000B470: D1FF002E 020663EA
	v_cndmask_b32_e64 v50, v46, v48, s[48:49]                  // 00000000B478: D1000032 00C2612E
	v_cmp_u_f32_e64 s[48:49], v235, v235                       // 00000000B480: D0480030 0003D7EB
	v_add3_u32 v46, v235, v49, 1                               // 00000000B488: D1FF002E 020663EB
	v_cndmask_b32_e64 v51, v46, v48, s[48:49]                  // 00000000B490: D1000033 00C2612E
	v_perm_b32 v229, v51, v50, s52                             // 00000000B498: D1ED00E5 00D26533
	v_cmp_u_f32_e64 s[48:49], v236, v236                       // 00000000B4A0: D0480030 0003D9EC
	v_add3_u32 v46, v236, v49, 1                               // 00000000B4A8: D1FF002E 020663EC
	v_cndmask_b32_e64 v50, v46, v48, s[48:49]                  // 00000000B4B0: D1000032 00C2612E
	v_cmp_u_f32_e64 s[48:49], v237, v237                       // 00000000B4B8: D0480030 0003DBED
	v_add3_u32 v46, v237, v49, 1                               // 00000000B4C0: D1FF002E 020663ED
	v_cndmask_b32_e64 v51, v46, v48, s[48:49]                  // 00000000B4C8: D1000033 00C2612E
	v_perm_b32 v230, v51, v50, s52                             // 00000000B4D0: D1ED00E6 00D26533
	v_cmp_u_f32_e64 s[48:49], v238, v238                       // 00000000B4D8: D0480030 0003DDEE
	v_add3_u32 v46, v238, v49, 1                               // 00000000B4E0: D1FF002E 020663EE
	v_cndmask_b32_e64 v50, v46, v48, s[48:49]                  // 00000000B4E8: D1000032 00C2612E
	v_cmp_u_f32_e64 s[48:49], v239, v239                       // 00000000B4F0: D0480030 0003DFEF
	v_add3_u32 v46, v239, v49, 1                               // 00000000B4F8: D1FF002E 020663EF
	v_cndmask_b32_e64 v51, v46, v48, s[48:49]                  // 00000000B500: D1000033 00C2612E
	v_perm_b32 v231, v51, v50, s52                             // 00000000B508: D1ED00E7 00D26533
	v_cmp_u_f32_e64 s[48:49], v240, v240                       // 00000000B510: D0480030 0003E1F0
	v_add3_u32 v46, v240, v49, 1                               // 00000000B518: D1FF002E 020663F0
	v_cndmask_b32_e64 v50, v46, v48, s[48:49]                  // 00000000B520: D1000032 00C2612E
	v_cmp_u_f32_e64 s[48:49], v241, v241                       // 00000000B528: D0480030 0003E3F1
	v_add3_u32 v46, v241, v49, 1                               // 00000000B530: D1FF002E 020663F1
	v_cndmask_b32_e64 v51, v46, v48, s[48:49]                  // 00000000B538: D1000033 00C2612E
	v_perm_b32 v232, v51, v50, s52                             // 00000000B540: D1ED00E8 00D26533
	v_cmp_u_f32_e64 s[48:49], v242, v242                       // 00000000B548: D0480030 0003E5F2
	v_add3_u32 v46, v242, v49, 1                               // 00000000B550: D1FF002E 020663F2
	v_cndmask_b32_e64 v50, v46, v48, s[48:49]                  // 00000000B558: D1000032 00C2612E
	v_cmp_u_f32_e64 s[48:49], v243, v243                       // 00000000B560: D0480030 0003E7F3
	v_add3_u32 v46, v243, v49, 1                               // 00000000B568: D1FF002E 020663F3
	v_cndmask_b32_e64 v51, v46, v48, s[48:49]                  // 00000000B570: D1000033 00C2612E
	v_perm_b32 v233, v51, v50, s52                             // 00000000B578: D1ED00E9 00D26533
	v_cmp_u_f32_e64 s[48:49], v244, v244                       // 00000000B580: D0480030 0003E9F4
	v_add3_u32 v46, v244, v49, 1                               // 00000000B588: D1FF002E 020663F4
	v_cndmask_b32_e64 v50, v46, v48, s[48:49]                  // 00000000B590: D1000032 00C2612E
	v_cmp_u_f32_e64 s[48:49], v245, v245                       // 00000000B598: D0480030 0003EBF5
	v_add3_u32 v46, v245, v49, 1                               // 00000000B5A0: D1FF002E 020663F5
	v_cndmask_b32_e64 v51, v46, v48, s[48:49]                  // 00000000B5A8: D1000033 00C2612E
	v_perm_b32 v234, v51, v50, s52                             // 00000000B5B0: D1ED00EA 00D26533
	v_cmp_u_f32_e64 s[48:49], v246, v246                       // 00000000B5B8: D0480030 0003EDF6
	v_add3_u32 v46, v246, v49, 1                               // 00000000B5C0: D1FF002E 020663F6
	v_cndmask_b32_e64 v50, v46, v48, s[48:49]                  // 00000000B5C8: D1000032 00C2612E
	v_cmp_u_f32_e64 s[48:49], v247, v247                       // 00000000B5D0: D0480030 0003EFF7
	v_add3_u32 v46, v247, v49, 1                               // 00000000B5D8: D1FF002E 020663F7
	v_cndmask_b32_e64 v51, v46, v48, s[48:49]                  // 00000000B5E0: D1000033 00C2612E
	v_perm_b32 v235, v51, v50, s52                             // 00000000B5E8: D1ED00EB 00D26533
	v_cmp_u_f32_e64 s[48:49], v248, v248                       // 00000000B5F0: D0480030 0003F1F8
	v_add3_u32 v46, v248, v49, 1                               // 00000000B5F8: D1FF002E 020663F8
	v_cndmask_b32_e64 v50, v46, v48, s[48:49]                  // 00000000B600: D1000032 00C2612E
	v_cmp_u_f32_e64 s[48:49], v249, v249                       // 00000000B608: D0480030 0003F3F9
	v_add3_u32 v46, v249, v49, 1                               // 00000000B610: D1FF002E 020663F9
	v_cndmask_b32_e64 v51, v46, v48, s[48:49]                  // 00000000B618: D1000033 00C2612E
	v_perm_b32 v236, v51, v50, s52                             // 00000000B620: D1ED00EC 00D26533
	v_cmp_u_f32_e64 s[48:49], v250, v250                       // 00000000B628: D0480030 0003F5FA
	v_add3_u32 v46, v250, v49, 1                               // 00000000B630: D1FF002E 020663FA
	v_cndmask_b32_e64 v50, v46, v48, s[48:49]                  // 00000000B638: D1000032 00C2612E
	v_cmp_u_f32_e64 s[48:49], v251, v251                       // 00000000B640: D0480030 0003F7FB
	v_add3_u32 v46, v251, v49, 1                               // 00000000B648: D1FF002E 020663FB
	v_cndmask_b32_e64 v51, v46, v48, s[48:49]                  // 00000000B650: D1000033 00C2612E
	v_perm_b32 v237, v51, v50, s52                             // 00000000B658: D1ED00ED 00D26533
	v_cmp_u_f32_e64 s[48:49], v252, v252                       // 00000000B660: D0480030 0003F9FC
	v_add3_u32 v46, v252, v49, 1                               // 00000000B668: D1FF002E 020663FC
	v_cndmask_b32_e64 v50, v46, v48, s[48:49]                  // 00000000B670: D1000032 00C2612E
	v_cmp_u_f32_e64 s[48:49], v253, v253                       // 00000000B678: D0480030 0003FBFD
	v_add3_u32 v46, v253, v49, 1                               // 00000000B680: D1FF002E 020663FD
	v_cndmask_b32_e64 v51, v46, v48, s[48:49]                  // 00000000B688: D1000033 00C2612E
	v_perm_b32 v238, v51, v50, s52                             // 00000000B690: D1ED00EE 00D26533
	v_cmp_u_f32_e64 s[48:49], v254, v254                       // 00000000B698: D0480030 0003FDFE
	v_add3_u32 v46, v254, v49, 1                               // 00000000B6A0: D1FF002E 020663FE
	v_cndmask_b32_e64 v50, v46, v48, s[48:49]                  // 00000000B6A8: D1000032 00C2612E
	v_cmp_u_f32_e64 s[48:49], v255, v255                       // 00000000B6B0: D0480030 0003FFFF
	v_add3_u32 v46, v255, v49, 1                               // 00000000B6B8: D1FF002E 020663FF
	v_cndmask_b32_e64 v51, v46, v48, s[48:49]                  // 00000000B6C0: D1000033 00C2612E
	v_perm_b32 v239, v51, v50, s52                             // 00000000B6C8: D1ED00EF 00D26533
	ds_write_b64 v3, v[224:225] offset:35072                   // 00000000B6D0: D89A8900 0000E003
	ds_write_b64 v3, v[226:227] offset:43776                   // 00000000B6D8: D89AAB00 0000E203
	ds_write_b64 v3, v[228:229] offset:37248                   // 00000000B6E0: D89A9180 0000E403
	ds_write_b64 v3, v[230:231] offset:45952                   // 00000000B6E8: D89AB380 0000E603
	ds_write_b64 v3, v[232:233] offset:39424                   // 00000000B6F0: D89A9A00 0000E803
	ds_write_b64 v3, v[234:235] offset:48128                   // 00000000B6F8: D89ABC00 0000EA03
	ds_write_b64 v3, v[236:237] offset:41600                   // 00000000B700: D89AA280 0000EC03
	ds_write_b64 v3, v[238:239] offset:50304                   // 00000000B708: D89AC480 0000EE03
	s_waitcnt lgkmcnt(0)                                       // 00000000B710: BF8CC07F
	s_barrier                                                  // 00000000B714: BF8A0000
	ds_read_b32 v64, v4 offset:35072                           // 00000000B718: D86C8900 40000004
	ds_read_b32 v65, v4 offset:39424                           // 00000000B720: D86C9A00 41000004
	ds_read_b32 v66, v4 offset:35104                           // 00000000B728: D86C8920 42000004
	ds_read_b32 v67, v4 offset:39456                           // 00000000B730: D86C9A20 43000004
	ds_read_b32 v68, v4 offset:35136                           // 00000000B738: D86C8940 44000004
	ds_read_b32 v69, v4 offset:39488                           // 00000000B740: D86C9A40 45000004
	ds_read_b32 v70, v4 offset:35168                           // 00000000B748: D86C8960 46000004
	ds_read_b32 v71, v4 offset:39520                           // 00000000B750: D86C9A60 47000004
	ds_read_b32 v72, v4 offset:43776                           // 00000000B758: D86CAB00 48000004
	ds_read_b32 v73, v4 offset:48128                           // 00000000B760: D86CBC00 49000004
	ds_read_b32 v74, v4 offset:43808                           // 00000000B768: D86CAB20 4A000004
	ds_read_b32 v75, v4 offset:48160                           // 00000000B770: D86CBC20 4B000004
	ds_read_b32 v76, v4 offset:43840                           // 00000000B778: D86CAB40 4C000004
	ds_read_b32 v77, v4 offset:48192                           // 00000000B780: D86CBC40 4D000004
	ds_read_b32 v78, v4 offset:43872                           // 00000000B788: D86CAB60 4E000004
	ds_read_b32 v79, v4 offset:48224                           // 00000000B790: D86CBC60 4F000004
	s_waitcnt lgkmcnt(0)                                       // 00000000B798: BF8CC07F
	s_mov_b64 exec, s[20:21]                                   // 00000000B79C: BEFE0114
	global_atomic_pk_add_bf16 v80, v64, s[8:9]                 // 00000000B7A0: DD488000 00084050
	s_mov_b64 exec, s[36:37]                                   // 00000000B7A8: BEFE0124
	s_mov_b64 exec, s[20:21]                                   // 00000000B7AC: BEFE0114
	global_atomic_pk_add_bf16 v80, v65, s[8:9] offset:256      // 00000000B7B0: DD488100 00084150
	s_mov_b64 exec, s[36:37]                                   // 00000000B7B8: BEFE0124
	s_mov_b64 exec, s[22:23]                                   // 00000000B7BC: BEFE0116
	global_atomic_pk_add_bf16 v82, v66, s[8:9]                 // 00000000B7C0: DD488000 00084252
	s_mov_b64 exec, s[36:37]                                   // 00000000B7C8: BEFE0124
	s_mov_b64 exec, s[22:23]                                   // 00000000B7CC: BEFE0116
	global_atomic_pk_add_bf16 v82, v67, s[8:9] offset:256      // 00000000B7D0: DD488100 00084352
	s_mov_b64 exec, s[36:37]                                   // 00000000B7D8: BEFE0124
	s_mov_b64 exec, s[24:25]                                   // 00000000B7DC: BEFE0118
	global_atomic_pk_add_bf16 v84, v68, s[8:9]                 // 00000000B7E0: DD488000 00084454
	s_mov_b64 exec, s[36:37]                                   // 00000000B7E8: BEFE0124
	s_mov_b64 exec, s[24:25]                                   // 00000000B7EC: BEFE0118
	global_atomic_pk_add_bf16 v84, v69, s[8:9] offset:256      // 00000000B7F0: DD488100 00084554
	s_mov_b64 exec, s[36:37]                                   // 00000000B7F8: BEFE0124
	s_mov_b64 exec, s[26:27]                                   // 00000000B7FC: BEFE011A
	global_atomic_pk_add_bf16 v86, v70, s[8:9]                 // 00000000B800: DD488000 00084656
	s_mov_b64 exec, s[36:37]                                   // 00000000B808: BEFE0124
	s_mov_b64 exec, s[26:27]                                   // 00000000B80C: BEFE011A
	global_atomic_pk_add_bf16 v86, v71, s[8:9] offset:256      // 00000000B810: DD488100 00084756
	s_mov_b64 exec, s[36:37]                                   // 00000000B818: BEFE0124
	s_mov_b64 exec, s[28:29]                                   // 00000000B81C: BEFE011C
	global_atomic_pk_add_bf16 v88, v72, s[8:9]                 // 00000000B820: DD488000 00084858
	s_mov_b64 exec, s[36:37]                                   // 00000000B828: BEFE0124
	s_mov_b64 exec, s[28:29]                                   // 00000000B82C: BEFE011C
	global_atomic_pk_add_bf16 v88, v73, s[8:9] offset:256      // 00000000B830: DD488100 00084958
	s_mov_b64 exec, s[36:37]                                   // 00000000B838: BEFE0124
	s_mov_b64 exec, s[30:31]                                   // 00000000B83C: BEFE011E
	global_atomic_pk_add_bf16 v90, v74, s[8:9]                 // 00000000B840: DD488000 00084A5A
	s_mov_b64 exec, s[36:37]                                   // 00000000B848: BEFE0124
	s_mov_b64 exec, s[30:31]                                   // 00000000B84C: BEFE011E
	global_atomic_pk_add_bf16 v90, v75, s[8:9] offset:256      // 00000000B850: DD488100 00084B5A
	s_mov_b64 exec, s[36:37]                                   // 00000000B858: BEFE0124
	s_mov_b64 exec, s[32:33]                                   // 00000000B85C: BEFE0120
	global_atomic_pk_add_bf16 v92, v76, s[8:9]                 // 00000000B860: DD488000 00084C5C
	s_mov_b64 exec, s[36:37]                                   // 00000000B868: BEFE0124
	s_mov_b64 exec, s[32:33]                                   // 00000000B86C: BEFE0120
	global_atomic_pk_add_bf16 v92, v77, s[8:9] offset:256      // 00000000B870: DD488100 00084D5C
	s_mov_b64 exec, s[36:37]                                   // 00000000B878: BEFE0124
	s_mov_b64 exec, s[34:35]                                   // 00000000B87C: BEFE0122
	global_atomic_pk_add_bf16 v94, v78, s[8:9]                 // 00000000B880: DD488000 00084E5E
	s_mov_b64 exec, s[36:37]                                   // 00000000B888: BEFE0124
	s_mov_b64 exec, s[34:35]                                   // 00000000B88C: BEFE0122
	global_atomic_pk_add_bf16 v94, v79, s[8:9] offset:256      // 00000000B890: DD488100 00084F5E
	s_mov_b64 exec, s[36:37]                                   // 00000000B898: BEFE0124
	s_add_u32 s8, s59, s8                                      // 00000000B89C: 8008083B
	s_addc_u32 s9, 0, s9                                       // 00000000B8A0: 82090980
	s_addk_i32 s80, 0x100                                      // 00000000B8A4: B7500100
	s_cmp_lt_i32 s80, s81                                      // 00000000B8A8: BF045150
	s_cbranch_scc0 label_1309                                  // 00000000B8AC: BF84EF9D
	s_branch label_1CB6                                        // 00000000B8B0: BF82F949

000000000000b8b4 <label_236D>:
	s_waitcnt vmcnt(0) expcnt(0) lgkmcnt(0)                    // 00000000B8B4: BF8C0000
	s_endpgm                                                   // 00000000B8B8: BF810000
